;; amdgpu-corpus repo=ROCm/rocFFT kind=compiled arch=gfx906 opt=O3
	.text
	.amdgcn_target "amdgcn-amd-amdhsa--gfx906"
	.amdhsa_code_object_version 6
	.protected	bluestein_single_fwd_len2023_dim1_sp_op_CI_CI ; -- Begin function bluestein_single_fwd_len2023_dim1_sp_op_CI_CI
	.globl	bluestein_single_fwd_len2023_dim1_sp_op_CI_CI
	.p2align	8
	.type	bluestein_single_fwd_len2023_dim1_sp_op_CI_CI,@function
bluestein_single_fwd_len2023_dim1_sp_op_CI_CI: ; @bluestein_single_fwd_len2023_dim1_sp_op_CI_CI
; %bb.0:
	s_load_dwordx4 s[0:3], s[4:5], 0x28
	v_mul_u32_u24_e32 v1, 0x227, v0
	v_add_u32_sdwa v112, s6, v1 dst_sel:DWORD dst_unused:UNUSED_PAD src0_sel:DWORD src1_sel:WORD_1
	v_mov_b32_e32 v113, 0
	s_waitcnt lgkmcnt(0)
	v_cmp_gt_u64_e32 vcc, s[0:1], v[112:113]
	s_and_saveexec_b64 s[0:1], vcc
	s_cbranch_execz .LBB0_10
; %bb.1:
	s_load_dwordx4 s[20:23], s[4:5], 0x18
	s_load_dwordx4 s[12:15], s[4:5], 0x0
	s_movk_i32 s0, 0x77
	v_mul_lo_u16_sdwa v1, v1, s0 dst_sel:DWORD dst_unused:UNUSED_PAD src0_sel:WORD_1 src1_sel:DWORD
	v_sub_u16_e32 v146, v0, v1
	s_waitcnt lgkmcnt(0)
	s_load_dwordx4 s[16:19], s[20:21], 0x0
	v_lshlrev_b32_e32 v145, 3, v146
	s_load_dwordx2 s[6:7], s[4:5], 0x38
	s_load_dwordx4 s[8:11], s[22:23], 0x0
	s_movk_i32 s4, 0x1000
	s_mov_b32 s5, 0xbe8c1d8e
	s_waitcnt lgkmcnt(0)
	v_mad_u64_u32 v[0:1], s[0:1], s18, v112, 0
	v_mad_u64_u32 v[2:3], s[0:1], s16, v146, 0
	s_mov_b32 s18, 0xbf7ba420
                                        ; implicit-def: $vgpr74
                                        ; implicit-def: $vgpr70
                                        ; implicit-def: $vgpr72
                                        ; implicit-def: $vgpr76
	v_mad_u64_u32 v[4:5], s[0:1], s19, v112, v[1:2]
	v_mad_u64_u32 v[5:6], s[0:1], s17, v146, v[3:4]
	v_mov_b32_e32 v1, v4
	v_lshlrev_b64 v[0:1], 3, v[0:1]
	v_mov_b32_e32 v3, v5
	v_mov_b32_e32 v4, s3
	v_add_co_u32_e32 v5, vcc, s2, v0
	v_addc_co_u32_e32 v4, vcc, v4, v1, vcc
	v_lshlrev_b64 v[0:1], 3, v[2:3]
	v_mov_b32_e32 v2, s13
	v_add_co_u32_e32 v0, vcc, v5, v0
	v_add_co_u32_e64 v78, s[0:1], s12, v145
	s_mul_i32 s2, s17, 0x3b8
	s_mul_hi_u32 s3, s16, 0x3b8
	v_addc_co_u32_e32 v1, vcc, v4, v1, vcc
	v_addc_co_u32_e64 v31, vcc, 0, v2, s[0:1]
	s_add_i32 s2, s3, s2
	s_mul_i32 s3, s16, 0x3b8
	v_mov_b32_e32 v3, s2
	v_add_co_u32_e32 v2, vcc, s3, v0
	v_addc_co_u32_e32 v3, vcc, v1, v3, vcc
	v_mov_b32_e32 v5, s2
	v_add_co_u32_e32 v4, vcc, s3, v2
	v_addc_co_u32_e32 v5, vcc, v3, v5, vcc
	;; [unrolled: 3-line block ×3, first 2 shown]
	global_load_dwordx2 v[8:9], v[0:1], off
	global_load_dwordx2 v[10:11], v[2:3], off
	;; [unrolled: 1-line block ×4, first 2 shown]
	global_load_dwordx2 v[129:130], v145, s[12:13]
	global_load_dwordx2 v[127:128], v145, s[12:13] offset:952
	global_load_dwordx2 v[123:124], v145, s[12:13] offset:1904
	;; [unrolled: 1-line block ×3, first 2 shown]
	v_mov_b32_e32 v1, s2
	v_add_co_u32_e32 v0, vcc, s3, v6
	v_addc_co_u32_e32 v1, vcc, v7, v1, vcc
	global_load_dwordx2 v[2:3], v[0:1], off
	global_load_dwordx2 v[115:116], v145, s[12:13] offset:3808
	v_mov_b32_e32 v4, s2
	v_add_co_u32_e32 v0, vcc, s3, v0
	v_addc_co_u32_e32 v1, vcc, v1, v4, vcc
	v_add_co_u32_e32 v6, vcc, s4, v78
	v_addc_co_u32_e32 v7, vcc, 0, v31, vcc
	global_load_dwordx2 v[4:5], v[0:1], off
	v_mov_b32_e32 v16, s2
	v_add_co_u32_e32 v0, vcc, s3, v0
	v_addc_co_u32_e32 v1, vcc, v1, v16, vcc
	global_load_dwordx2 v[16:17], v[0:1], off
	v_mov_b32_e32 v18, s2
	;; [unrolled: 4-line block ×3, first 2 shown]
	v_add_co_u32_e32 v0, vcc, s3, v0
	v_addc_co_u32_e32 v1, vcc, v1, v20, vcc
	global_load_dwordx2 v[20:21], v[0:1], off
	global_load_dwordx2 v[125:126], v[6:7], off offset:664
	global_load_dwordx2 v[121:122], v[6:7], off offset:1616
	;; [unrolled: 1-line block ×4, first 2 shown]
	v_mov_b32_e32 v6, s2
	v_add_co_u32_e32 v0, vcc, s3, v0
	v_addc_co_u32_e32 v1, vcc, v1, v6, vcc
	s_movk_i32 s4, 0x2000
	v_add_co_u32_e32 v22, vcc, s4, v78
	v_addc_co_u32_e32 v23, vcc, 0, v31, vcc
	global_load_dwordx2 v[6:7], v[0:1], off
	v_mov_b32_e32 v24, s2
	v_add_co_u32_e32 v0, vcc, s3, v0
	v_addc_co_u32_e32 v1, vcc, v1, v24, vcc
	global_load_dwordx2 v[24:25], v[0:1], off
	v_mov_b32_e32 v26, s2
	;; [unrolled: 4-line block ×3, first 2 shown]
	v_add_co_u32_e32 v0, vcc, s3, v0
	v_addc_co_u32_e32 v1, vcc, v1, v28, vcc
	global_load_dwordx2 v[28:29], v[0:1], off
	global_load_dwordx2 v[119:120], v[22:23], off offset:376
	global_load_dwordx2 v[110:111], v[22:23], off offset:1328
	;; [unrolled: 1-line block ×4, first 2 shown]
	v_mov_b32_e32 v22, s2
	v_add_co_u32_e32 v0, vcc, s3, v0
	v_addc_co_u32_e32 v1, vcc, v1, v22, vcc
	s_movk_i32 s4, 0x3000
	v_add_co_u32_e32 v30, vcc, s4, v78
	v_addc_co_u32_e32 v31, vcc, 0, v31, vcc
	global_load_dwordx2 v[22:23], v[0:1], off
	v_mov_b32_e32 v32, s2
	v_add_co_u32_e32 v0, vcc, s3, v0
	v_addc_co_u32_e32 v1, vcc, v1, v32, vcc
	global_load_dwordx2 v[104:105], v[30:31], off offset:88
	global_load_dwordx2 v[32:33], v[0:1], off
	global_load_dwordx2 v[100:101], v[30:31], off offset:1040
	v_mov_b32_e32 v34, s2
	v_add_co_u32_e32 v0, vcc, s3, v0
	v_addc_co_u32_e32 v1, vcc, v1, v34, vcc
	global_load_dwordx2 v[34:35], v[0:1], off
	global_load_dwordx2 v[98:99], v[30:31], off offset:1992
	v_mov_b32_e32 v36, s2
	v_add_co_u32_e32 v0, vcc, s3, v0
	v_addc_co_u32_e32 v1, vcc, v1, v36, vcc
	global_load_dwordx2 v[36:37], v[0:1], off
	global_load_dwordx2 v[96:97], v[30:31], off offset:2944
	s_waitcnt vmcnt(29)
	v_mul_f32_e32 v0, v9, v130
	v_mul_f32_e32 v1, v8, v130
	v_fmac_f32_e32 v0, v8, v129
	v_fma_f32 v1, v9, v129, -v1
	s_waitcnt vmcnt(28)
	v_mul_f32_e32 v8, v11, v128
	v_mul_f32_e32 v9, v10, v128
	v_fmac_f32_e32 v8, v10, v127
	v_fma_f32 v9, v11, v127, -v9
	ds_write2_b64 v145, v[0:1], v[8:9] offset1:119
	s_waitcnt vmcnt(27)
	v_mul_f32_e32 v0, v13, v124
	v_mul_f32_e32 v1, v12, v124
	s_waitcnt vmcnt(26)
	v_mul_f32_e32 v8, v15, v118
	v_mul_f32_e32 v9, v14, v118
	v_fmac_f32_e32 v0, v12, v123
	v_fma_f32 v1, v13, v123, -v1
	v_fmac_f32_e32 v8, v14, v117
	v_fma_f32 v9, v15, v117, -v9
	v_add_u32_e32 v10, 0x400, v145
	ds_write2_b64 v10, v[0:1], v[8:9] offset0:110 offset1:229
	s_waitcnt vmcnt(24)
	v_mul_f32_e32 v0, v3, v116
	v_mul_f32_e32 v1, v2, v116
	v_fmac_f32_e32 v0, v2, v115
	v_fma_f32 v1, v3, v115, -v1
	s_waitcnt vmcnt(19)
	v_mul_f32_e32 v2, v5, v126
	v_mul_f32_e32 v3, v4, v126
	v_fmac_f32_e32 v2, v4, v125
	v_fma_f32 v3, v5, v125, -v3
	v_add_u32_e32 v4, 0xc00, v145
	ds_write2_b64 v4, v[0:1], v[2:3] offset0:92 offset1:211
	s_waitcnt vmcnt(18)
	v_mul_f32_e32 v0, v17, v122
	v_mul_f32_e32 v1, v16, v122
	s_waitcnt vmcnt(17)
	v_mul_f32_e32 v2, v19, v114
	v_mul_f32_e32 v3, v18, v114
	v_fmac_f32_e32 v0, v16, v121
	v_fma_f32 v1, v17, v121, -v1
	v_fmac_f32_e32 v2, v18, v113
	v_fma_f32 v3, v19, v113, -v3
	v_add_u32_e32 v5, 0x1400, v145
	ds_write2_b64 v5, v[0:1], v[2:3] offset0:74 offset1:193
	s_waitcnt vmcnt(16)
	v_mul_f32_e32 v0, v21, v109
	v_mul_f32_e32 v1, v20, v109
	v_fmac_f32_e32 v0, v20, v108
	v_fma_f32 v1, v21, v108, -v1
	v_add_u32_e32 v8, 0x1c00, v145
	v_add_u32_e32 v9, 0x2400, v145
	;; [unrolled: 1-line block ×4, first 2 shown]
	s_waitcnt vmcnt(11)
	v_mul_f32_e32 v2, v7, v120
	v_mul_f32_e32 v3, v6, v120
	v_fmac_f32_e32 v2, v6, v119
	v_fma_f32 v3, v7, v119, -v3
	ds_write2_b64 v8, v[0:1], v[2:3] offset0:56 offset1:175
	s_waitcnt vmcnt(10)
	v_mul_f32_e32 v0, v25, v111
	v_mul_f32_e32 v1, v24, v111
	s_waitcnt vmcnt(9)
	v_mul_f32_e32 v2, v27, v107
	v_mul_f32_e32 v3, v26, v107
	v_fmac_f32_e32 v0, v24, v110
	v_fma_f32 v1, v25, v110, -v1
	v_fmac_f32_e32 v2, v26, v106
	v_fma_f32 v3, v27, v106, -v3
	ds_write2_b64 v9, v[0:1], v[2:3] offset0:38 offset1:157
	s_waitcnt vmcnt(8)
	v_mul_f32_e32 v0, v29, v103
	v_mul_f32_e32 v1, v28, v103
	v_fmac_f32_e32 v0, v28, v102
	v_fma_f32 v1, v29, v102, -v1
	s_waitcnt vmcnt(6)
	v_mul_f32_e32 v2, v23, v105
	v_mul_f32_e32 v3, v22, v105
	v_fmac_f32_e32 v2, v22, v104
	v_fma_f32 v3, v23, v104, -v3
	ds_write2_b64 v14, v[0:1], v[2:3] offset0:20 offset1:139
	s_waitcnt vmcnt(4)
	v_mul_f32_e32 v0, v33, v101
	v_mul_f32_e32 v1, v32, v101
	v_fmac_f32_e32 v0, v32, v100
	s_waitcnt vmcnt(2)
	v_mul_f32_e32 v2, v35, v99
	v_mul_f32_e32 v3, v34, v99
	v_fma_f32 v1, v33, v100, -v1
	v_fmac_f32_e32 v2, v34, v98
	v_fma_f32 v3, v35, v98, -v3
	ds_write2_b64 v12, v[0:1], v[2:3] offset0:130 offset1:249
	s_waitcnt vmcnt(0)
	v_mul_f32_e32 v0, v37, v97
	v_mul_f32_e32 v1, v36, v97
	v_fmac_f32_e32 v0, v36, v96
	v_fma_f32 v1, v37, v96, -v1
	ds_write_b64 v145, v[0:1] offset:15232
	s_waitcnt lgkmcnt(0)
	s_barrier
	ds_read2_b64 v[15:18], v145 offset1:119
	ds_read2_b64 v[19:22], v10 offset0:110 offset1:229
	ds_read2_b64 v[23:26], v4 offset0:92 offset1:211
	;; [unrolled: 1-line block ×7, first 2 shown]
	ds_read_b64 v[35:36], v145 offset:15232
	s_waitcnt lgkmcnt(8)
	v_add_f32_e32 v12, v15, v17
	v_add_f32_e32 v13, v16, v18
	s_waitcnt lgkmcnt(7)
	v_add_f32_e32 v12, v12, v19
	v_add_f32_e32 v13, v13, v20
	v_add_f32_e32 v12, v12, v21
	v_add_f32_e32 v13, v13, v22
	s_waitcnt lgkmcnt(6)
	v_add_f32_e32 v12, v12, v23
	v_add_f32_e32 v13, v13, v24
	;; [unrolled: 5-line block ×7, first 2 shown]
	v_add_f32_e32 v12, v12, v33
	s_waitcnt lgkmcnt(0)
	v_add_f32_e32 v37, v35, v17
	v_add_f32_e32 v38, v36, v18
	v_sub_f32_e32 v17, v17, v35
	v_sub_f32_e32 v18, v18, v36
	v_add_f32_e32 v13, v13, v34
	v_add_f32_e32 v12, v12, v35
	v_mul_f32_e32 v35, 0xbeb8f4ab, v18
	s_mov_b32 s12, 0x3f6eb680
	v_mul_f32_e32 v39, 0xbeb8f4ab, v17
	v_mul_f32_e32 v41, 0xbf2c7751, v18
	s_mov_b32 s4, 0x3f3d2fb0
	v_mul_f32_e32 v43, 0xbf2c7751, v17
	;; [unrolled: 3-line block ×4, first 2 shown]
	v_mul_f32_e32 v53, 0xbf763a35, v18
	v_mul_f32_e32 v55, 0xbf763a35, v17
	;; [unrolled: 1-line block ×3, first 2 shown]
	s_mov_b32 s16, 0xbf1a4643
	v_mul_f32_e32 v59, 0xbf4c4adb, v17
	v_mul_f32_e32 v61, 0xbf06c442, v18
	s_mov_b32 s17, 0xbf59a7d5
	v_mul_f32_e32 v63, 0xbf06c442, v17
	v_mul_f32_e32 v18, 0xbe3c28d5, v18
	v_mul_f32_e32 v17, 0xbe3c28d5, v17
	v_add_f32_e32 v13, v13, v36
	v_fma_f32 v36, v37, s12, -v35
	v_mov_b32_e32 v40, v39
	v_fmac_f32_e32 v35, 0x3f6eb680, v37
	v_fma_f32 v42, v37, s4, -v41
	v_mov_b32_e32 v44, v43
	v_fmac_f32_e32 v41, 0x3f3d2fb0, v37
	;; [unrolled: 3-line block ×8, first 2 shown]
	v_add_f32_e32 v36, v15, v36
	v_fmac_f32_e32 v40, 0x3f6eb680, v38
	v_add_f32_e32 v35, v15, v35
	v_fma_f32 v39, v38, s12, -v39
	v_add_f32_e32 v42, v15, v42
	v_fmac_f32_e32 v44, 0x3f3d2fb0, v38
	v_add_f32_e32 v41, v15, v41
	v_fma_f32 v43, v38, s4, -v43
	;; [unrolled: 4-line block ×8, first 2 shown]
	v_add_f32_e32 v18, v34, v20
	v_sub_f32_e32 v20, v20, v34
	v_add_f32_e32 v40, v16, v40
	v_add_f32_e32 v39, v16, v39
	;; [unrolled: 1-line block ×17, first 2 shown]
	v_sub_f32_e32 v19, v19, v33
	v_mul_f32_e32 v33, 0xbf2c7751, v20
	v_fma_f32 v34, v17, s4, -v33
	v_add_f32_e32 v34, v34, v36
	v_mul_f32_e32 v36, 0xbf2c7751, v19
	v_fmac_f32_e32 v33, 0x3f3d2fb0, v17
	v_mov_b32_e32 v37, v36
	v_add_f32_e32 v33, v33, v35
	v_fma_f32 v35, v18, s4, -v36
	v_mul_f32_e32 v36, 0xbf7ee86f, v20
	v_fma_f32 v38, v17, s2, -v36
	v_fmac_f32_e32 v36, 0x3dbcf732, v17
	v_fmac_f32_e32 v37, 0x3f3d2fb0, v18
	v_add_f32_e32 v35, v35, v39
	v_mul_f32_e32 v39, 0xbf7ee86f, v19
	v_add_f32_e32 v36, v36, v41
	v_mul_f32_e32 v41, 0xbf4c4adb, v20
	v_add_f32_e32 v37, v37, v40
	v_add_f32_e32 v38, v38, v42
	v_mov_b32_e32 v40, v39
	v_fma_f32 v39, v18, s2, -v39
	v_fma_f32 v42, v17, s16, -v41
	v_fmac_f32_e32 v41, 0xbf1a4643, v17
	v_fmac_f32_e32 v40, 0x3dbcf732, v18
	v_add_f32_e32 v39, v39, v43
	v_mul_f32_e32 v43, 0xbf4c4adb, v19
	v_add_f32_e32 v41, v41, v45
	v_mul_f32_e32 v45, 0xbe3c28d5, v20
	v_add_f32_e32 v40, v40, v44
	v_add_f32_e32 v42, v42, v46
	v_mov_b32_e32 v44, v43
	v_fma_f32 v43, v18, s16, -v43
	;; [unrolled: 11-line block ×5, first 2 shown]
	v_fma_f32 v58, v17, s3, -v57
	v_fmac_f32_e32 v57, 0x3ee437d1, v17
	v_mul_f32_e32 v20, 0x3eb8f4ab, v20
	v_add_f32_e32 v55, v55, v59
	v_mul_f32_e32 v59, 0x3f65296c, v19
	v_add_f32_e32 v57, v57, v61
	v_fma_f32 v61, v17, s12, -v20
	v_mul_f32_e32 v19, 0x3eb8f4ab, v19
	v_fmac_f32_e32 v20, 0x3f6eb680, v17
	v_fmac_f32_e32 v56, 0xbe8c1d8e, v18
	v_add_f32_e32 v15, v20, v15
	v_fma_f32 v17, v18, s12, -v19
	v_sub_f32_e32 v20, v22, v32
	v_add_f32_e32 v56, v56, v60
	v_add_f32_e32 v58, v58, v62
	v_mov_b32_e32 v60, v59
	v_mov_b32_e32 v62, v19
	v_add_f32_e32 v16, v17, v16
	v_add_f32_e32 v17, v31, v21
	v_sub_f32_e32 v19, v21, v31
	v_mul_f32_e32 v21, 0xbf65296c, v20
	v_fmac_f32_e32 v60, 0x3ee437d1, v18
	v_fma_f32 v59, v18, s3, -v59
	v_fmac_f32_e32 v62, 0x3f6eb680, v18
	v_add_f32_e32 v18, v32, v22
	v_fma_f32 v22, v17, s3, -v21
	v_fmac_f32_e32 v21, 0x3ee437d1, v17
	v_mul_f32_e32 v31, 0xbf65296c, v19
	v_add_f32_e32 v21, v21, v33
	v_mul_f32_e32 v33, 0xbf4c4adb, v20
	v_add_f32_e32 v22, v22, v34
	v_mov_b32_e32 v32, v31
	v_fma_f32 v31, v18, s3, -v31
	v_fma_f32 v34, v17, s16, -v33
	v_fmac_f32_e32 v33, 0xbf1a4643, v17
	v_fmac_f32_e32 v32, 0x3ee437d1, v18
	v_add_f32_e32 v31, v31, v35
	v_mul_f32_e32 v35, 0xbf4c4adb, v19
	v_add_f32_e32 v33, v33, v36
	v_mul_f32_e32 v36, 0x3e3c28d5, v20
	v_add_f32_e32 v32, v32, v37
	v_add_f32_e32 v34, v34, v38
	v_mov_b32_e32 v37, v35
	v_fma_f32 v35, v18, s16, -v35
	v_fma_f32 v38, v17, s18, -v36
	v_fmac_f32_e32 v36, 0xbf7ba420, v17
	v_fmac_f32_e32 v37, 0xbf1a4643, v18
	v_add_f32_e32 v35, v35, v39
	v_mul_f32_e32 v39, 0x3e3c28d5, v19
	v_add_f32_e32 v36, v36, v41
	v_mul_f32_e32 v41, 0x3f763a35, v20
	v_add_f32_e32 v37, v37, v40
	;; [unrolled: 11-line block ×5, first 2 shown]
	v_add_f32_e32 v50, v50, v54
	v_mov_b32_e32 v52, v51
	v_fma_f32 v51, v18, s12, -v51
	v_fma_f32 v54, v17, s2, -v53
	v_fmac_f32_e32 v53, 0x3dbcf732, v17
	v_mul_f32_e32 v20, 0xbf06c442, v20
	v_add_f32_e32 v51, v51, v55
	v_mul_f32_e32 v55, 0xbf7ee86f, v19
	v_add_f32_e32 v53, v53, v57
	v_fma_f32 v57, v17, s17, -v20
	v_mul_f32_e32 v19, 0xbf06c442, v19
	v_fmac_f32_e32 v20, 0xbf59a7d5, v17
	v_fmac_f32_e32 v52, 0x3f6eb680, v18
	v_add_f32_e32 v15, v20, v15
	v_fma_f32 v17, v18, s17, -v19
	v_sub_f32_e32 v20, v24, v30
	v_add_f32_e32 v52, v52, v56
	v_add_f32_e32 v54, v54, v58
	v_mov_b32_e32 v56, v55
	v_mov_b32_e32 v58, v19
	v_add_f32_e32 v16, v17, v16
	v_add_f32_e32 v17, v29, v23
	v_sub_f32_e32 v19, v23, v29
	v_mul_f32_e32 v23, 0xbf7ee86f, v20
	v_fmac_f32_e32 v56, 0x3dbcf732, v18
	v_fma_f32 v55, v18, s2, -v55
	v_fmac_f32_e32 v58, 0xbf59a7d5, v18
	v_add_f32_e32 v18, v30, v24
	v_fma_f32 v24, v17, s2, -v23
	v_add_f32_e32 v22, v24, v22
	v_mul_f32_e32 v24, 0xbf7ee86f, v19
	v_fmac_f32_e32 v23, 0x3dbcf732, v17
	v_mov_b32_e32 v29, v24
	v_add_f32_e32 v21, v23, v21
	v_fma_f32 v23, v18, s2, -v24
	v_mul_f32_e32 v24, 0xbe3c28d5, v20
	v_fma_f32 v30, v17, s18, -v24
	v_fmac_f32_e32 v24, 0xbf7ba420, v17
	v_fmac_f32_e32 v29, 0x3dbcf732, v18
	v_add_f32_e32 v23, v23, v31
	v_mul_f32_e32 v31, 0xbe3c28d5, v19
	v_add_f32_e32 v24, v24, v33
	v_mul_f32_e32 v33, 0x3f763a35, v20
	v_add_f32_e32 v29, v29, v32
	v_add_f32_e32 v30, v30, v34
	v_mov_b32_e32 v32, v31
	v_fma_f32 v31, v18, s18, -v31
	v_fma_f32 v34, v17, s5, -v33
	v_fmac_f32_e32 v33, 0xbe8c1d8e, v17
	v_fmac_f32_e32 v32, 0xbf7ba420, v18
	v_add_f32_e32 v31, v31, v35
	v_mul_f32_e32 v35, 0x3f763a35, v19
	v_add_f32_e32 v33, v33, v36
	v_mul_f32_e32 v36, 0x3eb8f4ab, v20
	v_add_f32_e32 v32, v32, v37
	v_add_f32_e32 v34, v34, v38
	v_mov_b32_e32 v37, v35
	v_fma_f32 v35, v18, s5, -v35
	;; [unrolled: 11-line block ×5, first 2 shown]
	v_fma_f32 v50, v17, s16, -v49
	v_fmac_f32_e32 v49, 0xbf1a4643, v17
	v_mul_f32_e32 v20, 0x3f2c7751, v20
	v_add_f32_e32 v47, v47, v51
	v_mul_f32_e32 v51, 0x3f4c4adb, v19
	v_add_f32_e32 v49, v49, v53
	v_fma_f32 v53, v17, s4, -v20
	v_mul_f32_e32 v19, 0x3f2c7751, v19
	v_fmac_f32_e32 v20, 0x3f3d2fb0, v17
	v_fmac_f32_e32 v48, 0xbf59a7d5, v18
	v_add_f32_e32 v15, v20, v15
	v_fma_f32 v17, v18, s4, -v19
	v_sub_f32_e32 v20, v26, v28
	v_add_f32_e32 v48, v48, v52
	v_add_f32_e32 v50, v50, v54
	v_mov_b32_e32 v52, v51
	v_mov_b32_e32 v54, v19
	v_add_f32_e32 v16, v17, v16
	v_add_f32_e32 v17, v27, v25
	v_sub_f32_e32 v19, v25, v27
	v_mul_f32_e32 v25, 0xbf763a35, v20
	v_fmac_f32_e32 v52, 0xbf1a4643, v18
	v_fma_f32 v51, v18, s16, -v51
	v_fmac_f32_e32 v54, 0x3f3d2fb0, v18
	v_add_f32_e32 v18, v28, v26
	v_fma_f32 v26, v17, s5, -v25
	v_add_f32_e32 v22, v26, v22
	v_mul_f32_e32 v26, 0xbf763a35, v19
	v_fmac_f32_e32 v25, 0xbe8c1d8e, v17
	v_add_f32_e32 v21, v25, v21
	v_fma_f32 v25, v18, s5, -v26
	v_mov_b32_e32 v27, v26
	v_add_f32_e32 v23, v25, v23
	v_mul_f32_e32 v25, 0x3f06c442, v20
	v_fmac_f32_e32 v27, 0xbe8c1d8e, v18
	v_fma_f32 v26, v17, s17, -v25
	v_mul_f32_e32 v28, 0x3f06c442, v19
	v_fmac_f32_e32 v25, 0xbf59a7d5, v17
	v_add_f32_e32 v27, v27, v29
	v_mov_b32_e32 v29, v28
	v_add_f32_e32 v24, v25, v24
	v_fma_f32 v25, v18, s17, -v28
	v_mul_f32_e32 v28, 0x3f2c7751, v20
	v_add_f32_e32 v26, v26, v30
	v_fmac_f32_e32 v29, 0xbf59a7d5, v18
	v_add_f32_e32 v25, v25, v31
	v_fma_f32 v30, v17, s4, -v28
	v_mul_f32_e32 v31, 0x3f2c7751, v19
	v_fmac_f32_e32 v28, 0x3f3d2fb0, v17
	v_add_f32_e32 v29, v29, v32
	v_mov_b32_e32 v32, v31
	v_add_f32_e32 v28, v28, v33
	v_fma_f32 v31, v18, s4, -v31
	v_mul_f32_e32 v33, 0xbf65296c, v20
	v_add_f32_e32 v30, v30, v34
	v_fmac_f32_e32 v32, 0x3f3d2fb0, v18
	v_add_f32_e32 v31, v31, v35
	;; [unrolled: 11-line block ×5, first 2 shown]
	v_fma_f32 v46, v17, s12, -v45
	v_mul_f32_e32 v47, 0xbeb8f4ab, v19
	v_mul_f32_e32 v19, 0xbf4c4adb, v19
	v_add_f32_e32 v44, v44, v48
	v_add_f32_e32 v46, v46, v50
	v_mov_b32_e32 v48, v47
	v_fmac_f32_e32 v45, 0x3f6eb680, v17
	v_mul_f32_e32 v20, 0xbf4c4adb, v20
	v_mov_b32_e32 v50, v19
	v_fmac_f32_e32 v48, 0x3f6eb680, v18
	v_add_f32_e32 v45, v45, v49
	v_fma_f32 v47, v18, s12, -v47
	v_fma_f32 v49, v17, s16, -v20
	v_fmac_f32_e32 v50, 0xbf1a4643, v18
	v_fmac_f32_e32 v20, 0xbf1a4643, v17
	v_fma_f32 v17, v18, s16, -v19
	v_add_f32_e32 v18, v11, v5
	v_sub_f32_e32 v5, v5, v11
	v_add_f32_e32 v16, v17, v16
	v_add_f32_e32 v17, v10, v4
	v_sub_f32_e32 v4, v4, v10
	v_mul_f32_e32 v10, 0xbf4c4adb, v5
	v_fma_f32 v11, v17, s16, -v10
	v_mul_f32_e32 v19, 0xbf4c4adb, v4
	v_fmac_f32_e32 v10, 0xbf1a4643, v17
	v_add_f32_e32 v15, v20, v15
	v_mov_b32_e32 v20, v19
	v_add_f32_e32 v10, v10, v21
	v_fma_f32 v19, v18, s16, -v19
	v_mul_f32_e32 v21, 0x3f763a35, v5
	v_add_f32_e32 v11, v11, v22
	v_add_f32_e32 v19, v19, v23
	v_fma_f32 v22, v17, s5, -v21
	v_mul_f32_e32 v23, 0x3f763a35, v4
	v_fmac_f32_e32 v21, 0xbe8c1d8e, v17
	v_fmac_f32_e32 v20, 0xbf1a4643, v18
	v_add_f32_e32 v22, v22, v26
	v_mov_b32_e32 v26, v23
	v_add_f32_e32 v21, v21, v24
	v_fma_f32 v23, v18, s5, -v23
	v_mul_f32_e32 v24, 0xbeb8f4ab, v5
	v_add_f32_e32 v20, v20, v27
	v_fmac_f32_e32 v26, 0xbe8c1d8e, v18
	v_add_f32_e32 v23, v23, v25
	v_fma_f32 v25, v17, s12, -v24
	v_mul_f32_e32 v27, 0xbeb8f4ab, v4
	v_fmac_f32_e32 v24, 0x3f6eb680, v17
	v_add_f32_e32 v26, v26, v29
	v_mov_b32_e32 v29, v27
	v_add_f32_e32 v24, v24, v28
	v_fma_f32 v27, v18, s12, -v27
	v_mul_f32_e32 v28, 0xbf06c442, v5
	v_add_f32_e32 v25, v25, v30
	v_fmac_f32_e32 v29, 0x3f6eb680, v18
	v_add_f32_e32 v27, v27, v31
	v_fma_f32 v30, v17, s17, -v28
	v_mul_f32_e32 v31, 0xbf06c442, v4
	;; [unrolled: 11-line block ×4, first 2 shown]
	v_fmac_f32_e32 v36, 0x3f3d2fb0, v17
	v_add_f32_e32 v37, v37, v40
	v_mov_b32_e32 v40, v39
	v_add_f32_e32 v36, v36, v41
	v_fma_f32 v39, v18, s4, -v39
	v_mul_f32_e32 v41, 0xbe3c28d5, v5
	v_add_f32_e32 v38, v38, v42
	v_add_f32_e32 v39, v39, v43
	v_fma_f32 v42, v17, s18, -v41
	v_mul_f32_e32 v43, 0xbe3c28d5, v4
	v_mul_f32_e32 v4, 0x3f65296c, v4
	v_add_f32_e32 v42, v42, v46
	v_fmac_f32_e32 v41, 0xbf7ba420, v17
	v_mul_f32_e32 v5, 0x3f65296c, v5
	v_mov_b32_e32 v46, v4
	v_fma_f32 v4, v18, s3, -v4
	v_add_f32_e32 v41, v41, v45
	v_fma_f32 v45, v17, s3, -v5
	v_fmac_f32_e32 v5, 0x3ee437d1, v17
	v_add_f32_e32 v4, v4, v16
	v_add_f32_e32 v16, v9, v7
	v_sub_f32_e32 v7, v7, v9
	v_add_f32_e32 v5, v5, v15
	v_add_f32_e32 v15, v8, v6
	v_sub_f32_e32 v6, v6, v8
	v_mul_f32_e32 v8, 0xbf06c442, v7
	v_fma_f32 v9, v15, s17, -v8
	v_fmac_f32_e32 v40, 0x3f3d2fb0, v18
	v_add_f32_e32 v9, v9, v11
	v_mul_f32_e32 v11, 0xbf06c442, v6
	v_fmac_f32_e32 v8, 0xbf59a7d5, v15
	v_add_f32_e32 v40, v40, v44
	v_mov_b32_e32 v44, v43
	v_mov_b32_e32 v17, v11
	v_add_f32_e32 v8, v8, v10
	v_fma_f32 v10, v16, s17, -v11
	v_mul_f32_e32 v11, 0x3f65296c, v7
	v_fmac_f32_e32 v44, 0xbf7ba420, v18
	v_fma_f32 v43, v18, s18, -v43
	v_fmac_f32_e32 v46, 0x3ee437d1, v18
	v_fmac_f32_e32 v17, 0xbf59a7d5, v16
	v_add_f32_e32 v10, v10, v19
	v_fma_f32 v18, v15, s3, -v11
	v_mul_f32_e32 v19, 0x3f65296c, v6
	v_fmac_f32_e32 v11, 0x3ee437d1, v15
	v_add_f32_e32 v17, v17, v20
	v_mov_b32_e32 v20, v19
	v_add_f32_e32 v11, v11, v21
	v_fma_f32 v19, v16, s3, -v19
	v_mul_f32_e32 v21, 0xbf7ee86f, v7
	v_add_f32_e32 v18, v18, v22
	v_add_f32_e32 v19, v19, v23
	v_fma_f32 v22, v15, s2, -v21
	v_mul_f32_e32 v23, 0xbf7ee86f, v6
	v_fmac_f32_e32 v21, 0x3dbcf732, v15
	v_fmac_f32_e32 v20, 0x3ee437d1, v16
	v_add_f32_e32 v22, v22, v25
	v_mov_b32_e32 v25, v23
	v_add_f32_e32 v21, v21, v24
	v_fma_f32 v23, v16, s2, -v23
	v_mul_f32_e32 v24, 0x3f4c4adb, v7
	v_add_f32_e32 v20, v20, v26
	v_fmac_f32_e32 v25, 0x3dbcf732, v16
	v_add_f32_e32 v23, v23, v27
	v_fma_f32 v26, v15, s16, -v24
	v_mul_f32_e32 v27, 0x3f4c4adb, v6
	v_fmac_f32_e32 v24, 0xbf1a4643, v15
	v_add_f32_e32 v25, v25, v29
	v_mov_b32_e32 v29, v27
	v_add_f32_e32 v24, v24, v28
	v_fma_f32 v27, v16, s16, -v27
	v_mul_f32_e32 v28, 0xbeb8f4ab, v7
	v_add_f32_e32 v26, v26, v30
	v_fmac_f32_e32 v29, 0xbf1a4643, v16
	v_add_f32_e32 v27, v27, v31
	v_fma_f32 v30, v15, s12, -v28
	v_mul_f32_e32 v31, 0xbeb8f4ab, v6
	v_fmac_f32_e32 v28, 0x3f6eb680, v15
	v_add_f32_e32 v60, v60, v64
	v_add_f32_e32 v61, v61, v65
	v_add_f32_e32 v29, v29, v32
	v_mov_b32_e32 v32, v31
	v_add_f32_e32 v28, v28, v33
	v_fma_f32 v31, v16, s12, -v31
	v_mul_f32_e32 v33, 0xbe3c28d5, v7
	v_add_f32_e32 v59, v59, v63
	v_add_f32_e32 v62, v62, v66
	;; [unrolled: 1-line block ×5, first 2 shown]
	v_fmac_f32_e32 v32, 0x3f6eb680, v16
	v_add_f32_e32 v31, v31, v35
	v_fma_f32 v34, v15, s18, -v33
	v_mul_f32_e32 v35, 0xbe3c28d5, v6
	v_fmac_f32_e32 v33, 0xbf7ba420, v15
	v_add_f32_e32 v55, v55, v59
	v_add_f32_e32 v58, v58, v62
	v_add_f32_e32 v52, v52, v56
	v_add_f32_e32 v53, v53, v57
	v_add_f32_e32 v32, v32, v37
	v_mov_b32_e32 v37, v35
	v_add_f32_e32 v33, v33, v36
	v_fma_f32 v35, v16, s18, -v35
	v_mul_f32_e32 v36, 0x3f2c7751, v7
	v_add_f32_e32 v51, v51, v55
	v_add_f32_e32 v54, v54, v58
	;; [unrolled: 1-line block ×6, first 2 shown]
	v_fma_f32 v38, v15, s4, -v36
	v_mul_f32_e32 v39, 0x3f2c7751, v6
	v_fmac_f32_e32 v36, 0x3f3d2fb0, v15
	v_mul_f32_e32 v7, 0xbf763a35, v7
	v_mul_f32_e32 v6, 0xbf763a35, v6
	v_add_f32_e32 v47, v47, v51
	v_add_f32_e32 v50, v50, v54
	v_add_f32_e32 v44, v44, v48
	v_add_f32_e32 v45, v45, v49
	v_fmac_f32_e32 v37, 0xbf7ba420, v16
	v_add_f32_e32 v38, v38, v42
	v_add_f32_e32 v36, v36, v41
	v_fma_f32 v41, v15, s5, -v7
	v_mov_b32_e32 v42, v6
	v_sub_f32_e32 v48, v1, v3
	v_add_f32_e32 v43, v43, v47
	v_add_f32_e32 v46, v46, v50
	;; [unrolled: 1-line block ×3, first 2 shown]
	v_mov_b32_e32 v40, v39
	v_fma_f32 v39, v16, s4, -v39
	v_add_f32_e32 v41, v41, v45
	v_fmac_f32_e32 v42, 0xbe8c1d8e, v16
	v_fmac_f32_e32 v7, 0xbe8c1d8e, v15
	v_add_f32_e32 v45, v2, v0
	v_sub_f32_e32 v47, v0, v2
	v_mul_f32_e32 v2, 0xbe3c28d5, v48
	v_fmac_f32_e32 v40, 0x3f3d2fb0, v16
	v_add_f32_e32 v39, v39, v43
	v_add_f32_e32 v42, v42, v46
	;; [unrolled: 1-line block ×3, first 2 shown]
	v_fma_f32 v5, v16, s5, -v6
	v_add_f32_e32 v46, v3, v1
	v_fma_f32 v0, v45, s18, -v2
	v_mul_f32_e32 v3, 0xbe3c28d5, v47
	v_fmac_f32_e32 v2, 0xbf7ba420, v45
	v_add_f32_e32 v40, v40, v44
	v_add_f32_e32 v44, v5, v4
	;; [unrolled: 1-line block ×3, first 2 shown]
	v_fma_f32 v2, v46, s18, -v3
	v_mul_f32_e32 v4, 0x3eb8f4ab, v48
	v_add_f32_e32 v67, v2, v10
	v_fma_f32 v2, v45, s12, -v4
	v_mul_f32_e32 v5, 0x3eb8f4ab, v47
	v_fmac_f32_e32 v4, 0x3f6eb680, v45
	v_add_f32_e32 v68, v4, v11
	v_fma_f32 v4, v46, s12, -v5
	v_mul_f32_e32 v6, 0xbf06c442, v48
	v_add_f32_e32 v69, v4, v19
	v_fma_f32 v4, v45, s17, -v6
	v_mul_f32_e32 v7, 0xbf06c442, v47
	v_fmac_f32_e32 v6, 0xbf59a7d5, v45
	v_add_f32_e32 v0, v0, v9
	v_mov_b32_e32 v1, v3
	v_mov_b32_e32 v3, v5
	v_add_f32_e32 v64, v6, v21
	v_fma_f32 v6, v46, s17, -v7
	v_mul_f32_e32 v8, 0x3f2c7751, v48
	v_mul_f32_e32 v9, 0x3f2c7751, v47
	;; [unrolled: 1-line block ×3, first 2 shown]
	v_fmac_f32_e32 v3, 0x3f6eb680, v46
	v_mov_b32_e32 v5, v7
	v_add_f32_e32 v65, v6, v23
	v_fma_f32 v6, v45, s4, -v8
	v_mov_b32_e32 v7, v9
	v_fmac_f32_e32 v8, 0x3f3d2fb0, v45
	v_fma_f32 v10, v45, s16, -v15
	v_fmac_f32_e32 v15, 0xbf1a4643, v45
	v_add_f32_e32 v3, v3, v20
	v_fmac_f32_e32 v7, 0x3f3d2fb0, v46
	v_add_f32_e32 v8, v8, v24
	v_fma_f32 v9, v46, s4, -v9
	v_mul_f32_e32 v16, 0xbf4c4adb, v47
	v_add_f32_e32 v15, v15, v28
	v_mul_f32_e32 v20, 0x3f65296c, v47
	v_mul_f32_e32 v24, 0xbf763a35, v47
	;; [unrolled: 1-line block ×3, first 2 shown]
	v_fmac_f32_e32 v1, 0xbf7ba420, v46
	v_add_f32_e32 v2, v2, v18
	v_add_f32_e32 v4, v4, v22
	v_fmac_f32_e32 v5, 0xbf59a7d5, v46
	v_add_f32_e32 v6, v6, v26
	v_add_f32_e32 v7, v7, v29
	;; [unrolled: 1-line block ×3, first 2 shown]
	v_mov_b32_e32 v11, v16
	v_mul_f32_e32 v19, 0x3f65296c, v48
	v_mov_b32_e32 v18, v20
	v_mul_f32_e32 v23, 0xbf763a35, v48
	;; [unrolled: 2-line block ×3, first 2 shown]
	v_mov_b32_e32 v26, v28
	v_mul_lo_u16_e32 v29, 17, v146
	v_add_f32_e32 v1, v1, v17
	v_add_f32_e32 v5, v5, v25
	v_fmac_f32_e32 v11, 0xbf1a4643, v46
	v_fma_f32 v16, v46, s16, -v16
	v_fma_f32 v17, v45, s3, -v19
	v_fmac_f32_e32 v18, 0x3ee437d1, v46
	v_fmac_f32_e32 v19, 0x3ee437d1, v45
	v_fma_f32 v20, v46, s3, -v20
	v_fma_f32 v21, v45, s5, -v23
	v_fmac_f32_e32 v22, 0xbe8c1d8e, v46
	;; [unrolled: 4-line block ×3, first 2 shown]
	v_fmac_f32_e32 v27, 0x3dbcf732, v45
	v_fma_f32 v28, v46, s2, -v28
	v_lshlrev_b32_e32 v82, 3, v29
	v_add_f32_e32 v10, v10, v30
	v_add_f32_e32 v11, v11, v32
	;; [unrolled: 1-line block ×15, first 2 shown]
	s_barrier
	ds_write2_b64 v82, v[12:13], v[0:1] offset1:1
	ds_write2_b64 v82, v[2:3], v[4:5] offset0:2 offset1:3
	ds_write2_b64 v82, v[6:7], v[10:11] offset0:4 offset1:5
	;; [unrolled: 1-line block ×7, first 2 shown]
	ds_write_b64 v82, v[66:67] offset:128
	v_add_u32_e32 v0, 0x800, v145
	s_waitcnt lgkmcnt(0)
	s_barrier
	ds_read2_b64 v[36:39], v0 offset0:33 offset1:152
	v_add_u32_e32 v0, 0x1000, v145
	ds_read2_b64 v[40:43], v0 offset0:66 offset1:185
	v_add_u32_e32 v0, 0x1800, v145
	;; [unrolled: 2-line block ×3, first 2 shown]
	ds_read2_b64 v[24:27], v145 offset1:119
	ds_read2_b64 v[52:55], v0 offset0:132 offset1:251
	ds_read2_b64 v[56:59], v14 offset0:37 offset1:156
	v_add_u32_e32 v0, 0x3400, v145
	ds_read2_b64 v[60:63], v0 offset0:70 offset1:189
	v_cmp_gt_u16_e32 vcc, 51, v146
	s_and_saveexec_b64 s[2:3], vcc
	s_cbranch_execz .LBB0_3
; %bb.2:
	ds_read_b64 v[64:65], v145 offset:1904
	ds_read_b64 v[68:69], v145 offset:4216
	;; [unrolled: 1-line block ×7, first 2 shown]
.LBB0_3:
	s_or_b64 exec, exec, s[2:3]
	s_movk_i32 s2, 0xf1
	v_mul_lo_u16_sdwa v0, v146, s2 dst_sel:DWORD dst_unused:UNUSED_PAD src0_sel:BYTE_0 src1_sel:DWORD
	v_lshrrev_b16_e32 v79, 12, v0
	v_add_u16_e32 v0, 0xee, v146
	v_mul_u32_u24_e32 v1, 0xf0f1, v0
	v_add_u16_e32 v9, 0x77, v146
	v_mul_lo_u16_e32 v8, 17, v79
	v_lshrrev_b32_e32 v147, 20, v1
	v_mul_lo_u16_sdwa v10, v9, s2 dst_sel:DWORD dst_unused:UNUSED_PAD src0_sel:BYTE_0 src1_sel:DWORD
	v_mul_lo_u16_e32 v1, 17, v147
	v_sub_u16_e32 v8, v146, v8
	v_lshrrev_b16_e32 v83, 12, v10
	v_sub_u16_e32 v148, v0, v1
	v_and_b32_e32 v81, 0xff, v8
	v_mul_lo_u16_e32 v10, 17, v83
	v_mul_lo_u16_e32 v0, 6, v148
	v_mul_u32_u24_e32 v8, 6, v81
	v_sub_u16_e32 v9, v9, v10
	v_lshlrev_b32_e32 v80, 3, v0
	v_lshlrev_b32_e32 v8, 3, v8
	v_and_b32_e32 v84, 0xff, v9
	global_load_dwordx4 v[4:7], v80, s[14:15] offset:16
	global_load_dwordx4 v[0:3], v80, s[14:15]
	global_load_dwordx4 v[44:47], v8, s[14:15]
	global_load_dwordx4 v[32:35], v8, s[14:15] offset:16
	global_load_dwordx4 v[28:31], v8, s[14:15] offset:32
	v_mul_u32_u24_e32 v8, 6, v84
	v_lshlrev_b32_e32 v85, 3, v8
	global_load_dwordx4 v[20:23], v85, s[14:15]
	global_load_dwordx4 v[16:19], v85, s[14:15] offset:16
	global_load_dwordx4 v[12:15], v85, s[14:15] offset:32
	;; [unrolled: 1-line block ×3, first 2 shown]
	s_mov_b32 s2, 0x3f5ff5aa
	s_mov_b32 s3, 0x3f3bfb3b
	;; [unrolled: 1-line block ×4, first 2 shown]
	s_waitcnt vmcnt(0) lgkmcnt(0)
	s_barrier
	v_mul_f32_e32 v88, v75, v5
	v_mul_f32_e32 v90, v36, v45
	;; [unrolled: 1-line block ×7, first 2 shown]
	v_fmac_f32_e32 v137, v39, v20
	v_fma_f32 v39, v42, v22, -v138
	v_mul_f32_e32 v42, v77, v7
	v_mul_f32_e32 v89, v37, v45
	;; [unrolled: 1-line block ×6, first 2 shown]
	v_fmac_f32_e32 v90, v37, v44
	v_fma_f32 v37, v40, v46, -v91
	v_fma_f32 v91, v76, v6, -v42
	v_mul_f32_e32 v76, v76, v7
	v_mul_f32_e32 v42, v71, v9
	v_mul_f32_e32 v92, v40, v47
	v_mul_f32_e32 v95, v53, v35
	v_mul_f32_e32 v133, v56, v29
	v_mul_f32_e32 v135, v60, v31
	v_mul_f32_e32 v140, v51, v17
	v_fma_f32 v36, v36, v44, -v89
	v_fma_f32 v40, v48, v32, -v93
	v_fmac_f32_e32 v94, v49, v32
	v_fma_f32 v48, v56, v28, -v132
	v_fma_f32 v49, v60, v30, -v134
	v_fmac_f32_e32 v76, v77, v6
	v_fma_f32 v77, v70, v8, -v42
	v_mul_f32_e32 v42, v73, v11
	v_mul_f32_e32 v131, v52, v35
	;; [unrolled: 1-line block ×4, first 2 shown]
	v_fmac_f32_e32 v92, v41, v46
	v_fma_f32 v41, v52, v34, -v95
	v_fmac_f32_e32 v133, v57, v28
	v_fmac_f32_e32 v135, v61, v30
	v_fma_f32 v60, v50, v16, -v140
	v_fma_f32 v95, v72, v10, -v42
	v_add_f32_e32 v42, v36, v49
	v_add_f32_e32 v50, v37, v48
	v_mul_f32_e32 v86, v67, v3
	v_mul_f32_e32 v143, v54, v19
	;; [unrolled: 1-line block ×3, first 2 shown]
	v_fmac_f32_e32 v131, v53, v34
	v_fmac_f32_e32 v139, v43, v22
	v_fmac_f32_e32 v141, v51, v16
	v_fma_f32 v61, v54, v18, -v142
	v_add_f32_e32 v43, v90, v135
	v_add_f32_e32 v51, v92, v133
	v_sub_f32_e32 v37, v37, v48
	v_add_f32_e32 v52, v40, v41
	v_sub_f32_e32 v40, v41, v40
	v_add_f32_e32 v54, v50, v42
	v_mul_f32_e32 v87, v66, v3
	v_mul_f32_e32 v149, v58, v13
	;; [unrolled: 1-line block ×3, first 2 shown]
	v_fma_f32 v86, v66, v2, -v86
	v_fmac_f32_e32 v143, v55, v18
	v_fma_f32 v66, v58, v12, -v144
	v_sub_f32_e32 v36, v36, v49
	v_sub_f32_e32 v48, v92, v133
	v_add_f32_e32 v53, v94, v131
	v_sub_f32_e32 v41, v131, v94
	v_add_f32_e32 v55, v51, v43
	v_sub_f32_e32 v56, v50, v42
	v_sub_f32_e32 v58, v42, v52
	;; [unrolled: 1-line block ×3, first 2 shown]
	v_add_f32_e32 v42, v40, v37
	v_add_f32_e32 v52, v52, v54
	v_mul_f32_e32 v80, v69, v1
	v_mul_f32_e32 v150, v63, v15
	v_fmac_f32_e32 v149, v59, v12
	v_fmac_f32_e32 v151, v63, v14
	v_sub_f32_e32 v49, v90, v135
	v_sub_f32_e32 v57, v51, v43
	;; [unrolled: 1-line block ×4, first 2 shown]
	v_add_f32_e32 v43, v41, v48
	v_sub_f32_e32 v63, v40, v37
	v_sub_f32_e32 v40, v36, v40
	;; [unrolled: 1-line block ×3, first 2 shown]
	v_add_f32_e32 v53, v53, v55
	v_add_f32_e32 v36, v42, v36
	;; [unrolled: 1-line block ×3, first 2 shown]
	v_mul_f32_e32 v85, v68, v1
	v_fma_f32 v80, v68, v0, -v80
	v_fmac_f32_e32 v87, v67, v2
	v_sub_f32_e32 v67, v41, v48
	v_sub_f32_e32 v41, v49, v41
	;; [unrolled: 1-line block ×3, first 2 shown]
	v_add_f32_e32 v49, v43, v49
	v_add_f32_e32 v43, v25, v53
	v_mov_b32_e32 v68, v42
	v_mul_f32_e32 v24, 0x3f4a47b2, v58
	v_mul_f32_e32 v54, 0x3d64c772, v50
	;; [unrolled: 1-line block ×4, first 2 shown]
	v_fmac_f32_e32 v68, 0xbf955555, v52
	v_mov_b32_e32 v52, v43
	v_mul_f32_e32 v25, 0x3f4a47b2, v59
	v_mul_f32_e32 v59, 0xbf08b237, v63
	;; [unrolled: 1-line block ×3, first 2 shown]
	v_fmac_f32_e32 v52, 0xbf955555, v53
	v_fma_f32 v53, v56, s3, -v54
	v_fma_f32 v54, v57, s3, -v55
	;; [unrolled: 1-line block ×3, first 2 shown]
	v_fmac_f32_e32 v24, 0x3d64c772, v50
	v_fma_f32 v56, v48, s2, -v58
	v_fmac_f32_e32 v58, 0x3eae86e6, v41
	v_fma_f32 v38, v38, v20, -v136
	v_fma_f32 v62, v62, v14, -v150
	v_mul_f32_e32 v67, 0x3f5ff5aa, v48
	v_fma_f32 v50, v57, s4, -v25
	v_fmac_f32_e32 v25, 0x3d64c772, v51
	v_fma_f32 v37, v37, s2, -v59
	v_fmac_f32_e32 v59, 0x3eae86e6, v40
	v_fma_f32 v40, v40, s5, -v63
	v_add_f32_e32 v24, v24, v68
	v_fmac_f32_e32 v58, 0x3ee1c552, v49
	v_fma_f32 v41, v41, s5, -v67
	v_add_f32_e32 v25, v25, v52
	v_add_f32_e32 v57, v53, v68
	;; [unrolled: 1-line block ×4, first 2 shown]
	v_fmac_f32_e32 v59, 0x3ee1c552, v36
	v_fmac_f32_e32 v37, 0x3ee1c552, v36
	;; [unrolled: 1-line block ×4, first 2 shown]
	v_add_f32_e32 v48, v58, v24
	v_sub_f32_e32 v58, v24, v58
	v_add_f32_e32 v24, v38, v62
	v_sub_f32_e32 v36, v38, v62
	v_add_f32_e32 v38, v39, v66
	v_add_f32_e32 v63, v54, v52
	v_fmac_f32_e32 v41, 0x3ee1c552, v49
	v_sub_f32_e32 v49, v25, v59
	v_sub_f32_e32 v51, v68, v40
	;; [unrolled: 1-line block ×3, first 2 shown]
	v_add_f32_e32 v54, v56, v57
	v_add_f32_e32 v57, v40, v68
	;; [unrolled: 1-line block ×5, first 2 shown]
	v_sub_f32_e32 v39, v39, v66
	v_add_f32_e32 v62, v60, v61
	v_add_f32_e32 v66, v38, v24
	;; [unrolled: 1-line block ×4, first 2 shown]
	v_sub_f32_e32 v55, v63, v37
	v_sub_f32_e32 v56, v67, v41
	v_add_f32_e32 v63, v141, v143
	v_sub_f32_e32 v60, v61, v60
	v_add_f32_e32 v67, v40, v25
	v_sub_f32_e32 v68, v38, v24
	v_sub_f32_e32 v24, v24, v62
	;; [unrolled: 1-line block ×3, first 2 shown]
	v_add_f32_e32 v62, v62, v66
	v_fmac_f32_e32 v85, v69, v0
	v_fma_f32 v88, v74, v4, -v88
	v_mul_f32_e32 v89, v74, v5
	v_mul_f32_e32 v93, v70, v9
	;; [unrolled: 1-line block ×3, first 2 shown]
	v_sub_f32_e32 v37, v137, v151
	v_sub_f32_e32 v41, v139, v149
	;; [unrolled: 1-line block ×6, first 2 shown]
	v_add_f32_e32 v70, v60, v39
	v_sub_f32_e32 v72, v60, v39
	v_sub_f32_e32 v74, v36, v60
	v_add_f32_e32 v63, v63, v67
	v_add_f32_e32 v60, v26, v62
	v_fmac_f32_e32 v89, v75, v4
	v_fmac_f32_e32 v93, v71, v8
	;; [unrolled: 1-line block ×3, first 2 shown]
	v_add_f32_e32 v71, v61, v41
	v_sub_f32_e32 v73, v61, v41
	v_sub_f32_e32 v75, v37, v61
	;; [unrolled: 1-line block ×3, first 2 shown]
	v_add_f32_e32 v36, v70, v36
	v_add_f32_e32 v61, v27, v63
	v_mov_b32_e32 v70, v60
	v_sub_f32_e32 v41, v41, v37
	v_mul_f32_e32 v24, 0x3f4a47b2, v24
	v_mul_f32_e32 v25, 0x3f4a47b2, v25
	;; [unrolled: 1-line block ×4, first 2 shown]
	v_fmac_f32_e32 v70, 0xbf955555, v62
	v_mov_b32_e32 v62, v61
	v_add_f32_e32 v37, v71, v37
	v_mul_f32_e32 v26, 0x3d64c772, v38
	v_mul_f32_e32 v27, 0x3d64c772, v40
	;; [unrolled: 1-line block ×4, first 2 shown]
	v_fmac_f32_e32 v62, 0xbf955555, v63
	v_fma_f32 v63, v68, s4, -v24
	v_fmac_f32_e32 v24, 0x3d64c772, v38
	v_fma_f32 v38, v69, s4, -v25
	;; [unrolled: 2-line block ×5, first 2 shown]
	v_fma_f32 v27, v69, s3, -v27
	v_fma_f32 v41, v74, s5, -v66
	;; [unrolled: 1-line block ×3, first 2 shown]
	v_add_f32_e32 v24, v24, v70
	v_add_f32_e32 v25, v25, v62
	v_fmac_f32_e32 v90, 0x3ee1c552, v36
	v_fmac_f32_e32 v92, 0x3ee1c552, v37
	v_add_f32_e32 v26, v26, v70
	v_add_f32_e32 v27, v27, v62
	;; [unrolled: 1-line block ×4, first 2 shown]
	v_fmac_f32_e32 v39, 0x3ee1c552, v36
	v_fmac_f32_e32 v40, 0x3ee1c552, v37
	;; [unrolled: 1-line block ×4, first 2 shown]
	v_add_f32_e32 v62, v92, v24
	v_sub_f32_e32 v63, v25, v90
	v_sub_f32_e32 v74, v24, v92
	v_add_f32_e32 v75, v90, v25
	v_add_f32_e32 v24, v80, v95
	;; [unrolled: 1-line block ×6, first 2 shown]
	v_sub_f32_e32 v67, v38, v41
	v_sub_f32_e32 v68, v26, v40
	v_add_f32_e32 v69, v39, v27
	v_add_f32_e32 v70, v40, v26
	v_sub_f32_e32 v71, v27, v39
	v_sub_f32_e32 v72, v73, v72
	v_add_f32_e32 v73, v41, v38
	v_sub_f32_e32 v26, v80, v95
	v_sub_f32_e32 v27, v85, v132
	;; [unrolled: 1-line block ×4, first 2 shown]
	v_add_f32_e32 v40, v88, v91
	v_add_f32_e32 v41, v89, v76
	v_sub_f32_e32 v77, v91, v88
	v_sub_f32_e32 v76, v76, v89
	v_add_f32_e32 v80, v36, v24
	v_add_f32_e32 v85, v37, v25
	v_sub_f32_e32 v86, v36, v24
	v_sub_f32_e32 v87, v37, v25
	;; [unrolled: 1-line block ×6, first 2 shown]
	v_add_f32_e32 v24, v77, v38
	v_add_f32_e32 v25, v76, v39
	;; [unrolled: 1-line block ×4, first 2 shown]
	v_sub_f32_e32 v91, v76, v39
	v_add_f32_e32 v80, v24, v26
	v_add_f32_e32 v85, v25, v27
	;; [unrolled: 1-line block ×4, first 2 shown]
	v_sub_f32_e32 v76, v27, v76
	v_sub_f32_e32 v39, v39, v27
	v_mul_f32_e32 v64, 0x3f4a47b2, v88
	v_mul_f32_e32 v65, 0x3f4a47b2, v89
	;; [unrolled: 1-line block ×5, first 2 shown]
	v_mov_b32_e32 v92, v24
	v_mov_b32_e32 v93, v25
	v_fmac_f32_e32 v92, 0xbf955555, v40
	v_fmac_f32_e32 v93, 0xbf955555, v41
	v_fma_f32 v40, v86, s3, -v88
	v_fma_f32 v41, v87, s3, -v89
	v_fma_f32 v86, v86, s4, -v64
	v_fmac_f32_e32 v64, 0x3d64c772, v36
	v_fma_f32 v89, v39, s2, -v27
	v_sub_f32_e32 v90, v77, v38
	v_sub_f32_e32 v38, v38, v26
	v_add_f32_e32 v36, v64, v92
	v_add_f32_e32 v64, v40, v92
	v_fmac_f32_e32 v89, 0x3ee1c552, v85
	v_sub_f32_e32 v77, v26, v77
	v_mul_f32_e32 v26, 0xbf08b237, v90
	v_mul_f32_e32 v90, 0x3f5ff5aa, v38
	;; [unrolled: 1-line block ×3, first 2 shown]
	v_sub_f32_e32 v131, v64, v89
	v_add_f32_e32 v135, v89, v64
	v_mul_u32_u24_e32 v64, 0x77, v79
	v_fma_f32 v87, v87, s4, -v65
	v_fmac_f32_e32 v65, 0x3d64c772, v37
	v_fma_f32 v88, v38, s2, -v26
	v_fmac_f32_e32 v26, 0x3eae86e6, v77
	v_fmac_f32_e32 v27, 0x3eae86e6, v76
	v_fma_f32 v37, v77, s5, -v90
	v_fma_f32 v38, v76, s5, -v91
	v_add_lshl_u32 v149, v64, v81, 3
	v_add_f32_e32 v39, v65, v93
	v_add_f32_e32 v65, v41, v93
	;; [unrolled: 1-line block ×4, first 2 shown]
	v_fmac_f32_e32 v26, 0x3ee1c552, v80
	v_fmac_f32_e32 v27, 0x3ee1c552, v85
	v_fmac_f32_e32 v88, 0x3ee1c552, v80
	v_fmac_f32_e32 v37, 0x3ee1c552, v80
	v_fmac_f32_e32 v38, 0x3ee1c552, v85
	ds_write2_b64 v149, v[42:43], v[48:49] offset1:17
	ds_write2_b64 v149, v[50:51], v[52:53] offset0:34 offset1:51
	ds_write2_b64 v149, v[54:55], v[56:57] offset0:68 offset1:85
	ds_write_b64 v149, v[58:59] offset:816
	v_mul_u32_u24_e32 v42, 0x77, v83
	v_add_f32_e32 v132, v88, v65
	v_sub_f32_e32 v136, v65, v88
	v_sub_f32_e32 v133, v40, v38
	v_add_f32_e32 v134, v37, v41
	v_sub_f32_e32 v137, v36, v27
	v_add_f32_e32 v138, v26, v39
	v_add_lshl_u32 v150, v42, v84, 3
	ds_write2_b64 v150, v[60:61], v[62:63] offset1:17
	ds_write2_b64 v150, v[66:67], v[68:69] offset0:34 offset1:51
	ds_write2_b64 v150, v[70:71], v[72:73] offset0:68 offset1:85
	ds_write_b64 v150, v[74:75] offset:816
	s_and_saveexec_b64 s[2:3], vcc
	s_cbranch_execz .LBB0_5
; %bb.4:
	s_movk_i32 s4, 0x77
	v_sub_f32_e32 v41, v41, v37
	v_sub_f32_e32 v37, v39, v26
	v_mad_legacy_u16 v26, v147, s4, v148
	v_add_f32_e32 v36, v27, v36
	v_lshlrev_b32_e32 v26, 3, v26
	v_add_f32_e32 v40, v38, v40
	ds_write2_b64 v26, v[24:25], v[36:37] offset1:17
	ds_write2_b64 v26, v[40:41], v[131:132] offset0:34 offset1:51
	ds_write2_b64 v26, v[135:136], v[133:134] offset0:68 offset1:85
	ds_write_b64 v26, v[137:138] offset:816
.LBB0_5:
	s_or_b64 exec, exec, s[2:3]
	v_lshlrev_b32_e32 v68, 7, v146
	s_waitcnt lgkmcnt(0)
	s_barrier
	global_load_dwordx4 v[60:63], v68, s[14:15] offset:816
	global_load_dwordx4 v[52:55], v68, s[14:15] offset:832
	;; [unrolled: 1-line block ×8, first 2 shown]
	ds_read2_b64 v[92:95], v145 offset1:119
	ds_read_b64 v[68:69], v145 offset:15232
	v_add_u32_e32 v73, 0x400, v145
	v_add_u32_e32 v72, 0xc00, v145
	;; [unrolled: 1-line block ×7, first 2 shown]
	ds_read2_b64 v[139:142], v73 offset0:110 offset1:229
	ds_read2_b64 v[152:155], v72 offset0:92 offset1:211
	;; [unrolled: 1-line block ×7, first 2 shown]
	v_mov_b32_e32 v74, s13
	s_mov_b32 s4, 0x3f3d2fb0
	s_mov_b32 s3, 0x3ee437d1
	;; [unrolled: 1-line block ×7, first 2 shown]
	s_movk_i32 s16, 0x3000
	v_addc_co_u32_e64 v74, s[0:1], 0, v74, s[0:1]
	s_movk_i32 s17, 0x3f38
	s_waitcnt vmcnt(7) lgkmcnt(8)
	v_mul_f32_e32 v79, v95, v61
	v_mul_f32_e32 v143, v94, v61
	s_waitcnt vmcnt(5) lgkmcnt(4)
	v_mul_f32_e32 v87, v156, v43
	v_mul_f32_e32 v81, v140, v63
	;; [unrolled: 1-line block ×4, first 2 shown]
	s_waitcnt vmcnt(4)
	v_mul_f32_e32 v178, v159, v25
	v_fma_f32 v94, v94, v60, -v79
	v_fmac_f32_e32 v87, v157, v42
	s_waitcnt vmcnt(0)
	v_mul_f32_e32 v157, v69, v39
	v_mul_f32_e32 v144, v139, v63
	;; [unrolled: 1-line block ×3, first 2 shown]
	v_fmac_f32_e32 v143, v95, v60
	v_fma_f32 v95, v139, v62, -v81
	v_fma_f32 v139, v141, v52, -v85
	;; [unrolled: 1-line block ×4, first 2 shown]
	v_mul_f32_e32 v158, v68, v39
	v_add_f32_e32 v68, v92, v94
	v_mul_f32_e32 v176, v141, v53
	v_mul_f32_e32 v86, v153, v55
	v_fmac_f32_e32 v144, v140, v62
	v_fmac_f32_e32 v158, v69, v38
	v_add_f32_e32 v69, v93, v143
	v_add_f32_e32 v68, v68, v95
	v_mul_f32_e32 v177, v152, v55
	v_mul_f32_e32 v89, v155, v41
	v_fmac_f32_e32 v176, v142, v52
	v_fma_f32 v140, v152, v54, -v86
	v_add_f32_e32 v69, v69, v144
	v_add_f32_e32 v68, v68, v139
	v_mul_f32_e32 v91, v154, v41
	v_fmac_f32_e32 v177, v153, v54
	v_fma_f32 v141, v154, v40, -v89
	v_add_f32_e32 v69, v69, v176
	v_add_f32_e32 v68, v68, v140
	v_fmac_f32_e32 v91, v155, v40
	v_fma_f32 v89, v156, v42, -v90
	v_add_f32_e32 v69, v69, v177
	v_add_f32_e32 v68, v68, v141
	s_waitcnt lgkmcnt(3)
	v_mul_f32_e32 v179, v161, v27
	v_add_f32_e32 v69, v69, v91
	v_add_f32_e32 v68, v68, v89
	v_mul_f32_e32 v75, v160, v27
	v_mul_f32_e32 v180, v163, v65
	v_fmac_f32_e32 v83, v159, v24
	v_fma_f32 v79, v160, v26, -v179
	v_add_f32_e32 v69, v69, v87
	v_add_f32_e32 v68, v68, v85
	v_mul_f32_e32 v77, v162, v65
	s_waitcnt lgkmcnt(2)
	v_mul_f32_e32 v181, v165, v67
	v_fmac_f32_e32 v75, v161, v26
	v_fma_f32 v81, v162, v64, -v180
	v_add_f32_e32 v69, v69, v83
	v_add_f32_e32 v68, v68, v79
	v_mul_f32_e32 v84, v164, v67
	v_mul_f32_e32 v182, v167, v57
	v_fmac_f32_e32 v77, v163, v64
	v_fma_f32 v86, v164, v66, -v181
	v_add_f32_e32 v69, v69, v75
	v_add_f32_e32 v68, v68, v81
	v_mul_f32_e32 v88, v166, v57
	s_waitcnt lgkmcnt(1)
	v_mul_f32_e32 v183, v169, v59
	v_fmac_f32_e32 v84, v165, v66
	v_fma_f32 v90, v166, v56, -v182
	v_add_f32_e32 v69, v69, v77
	v_add_f32_e32 v68, v68, v86
	v_mul_f32_e32 v184, v168, v59
	v_mul_f32_e32 v185, v171, v49
	v_fmac_f32_e32 v88, v167, v56
	v_fma_f32 v142, v168, v58, -v183
	v_add_f32_e32 v69, v69, v84
	v_add_f32_e32 v68, v68, v90
	v_mul_f32_e32 v186, v170, v49
	v_fmac_f32_e32 v184, v169, v58
	v_fma_f32 v152, v170, v48, -v185
	s_waitcnt lgkmcnt(0)
	v_mul_f32_e32 v153, v173, v51
	v_add_f32_e32 v69, v69, v88
	v_add_f32_e32 v68, v68, v142
	v_fmac_f32_e32 v186, v171, v48
	v_fma_f32 v153, v172, v50, -v153
	v_mul_f32_e32 v154, v172, v51
	v_mul_f32_e32 v155, v175, v37
	v_add_f32_e32 v69, v69, v184
	v_add_f32_e32 v68, v68, v152
	v_fmac_f32_e32 v154, v173, v50
	v_fma_f32 v155, v174, v36, -v155
	v_mul_f32_e32 v156, v174, v37
	v_add_f32_e32 v69, v69, v186
	v_add_f32_e32 v68, v68, v153
	v_fmac_f32_e32 v156, v175, v36
	v_add_f32_e32 v69, v69, v154
	v_add_f32_e32 v68, v68, v155
	;; [unrolled: 1-line block ×4, first 2 shown]
	v_sub_f32_e32 v94, v94, v157
	v_sub_f32_e32 v143, v143, v158
	v_add_f32_e32 v69, v69, v156
	v_add_f32_e32 v68, v68, v157
	v_mul_f32_e32 v157, 0xbeb8f4ab, v143
	v_mul_f32_e32 v161, 0xbeb8f4ab, v94
	;; [unrolled: 1-line block ×16, first 2 shown]
	v_add_f32_e32 v69, v69, v158
	v_fma_f32 v158, v159, s12, -v157
	v_mov_b32_e32 v162, v161
	v_fmac_f32_e32 v157, 0x3f6eb680, v159
	v_fma_f32 v164, v159, s4, -v163
	v_mov_b32_e32 v166, v165
	v_fmac_f32_e32 v163, 0x3f3d2fb0, v159
	;; [unrolled: 3-line block ×8, first 2 shown]
	v_add_f32_e32 v158, v92, v158
	v_fmac_f32_e32 v162, 0x3f6eb680, v160
	v_add_f32_e32 v157, v92, v157
	v_fma_f32 v161, v160, s12, -v161
	v_add_f32_e32 v164, v92, v164
	v_fmac_f32_e32 v166, 0x3f3d2fb0, v160
	v_add_f32_e32 v163, v92, v163
	v_fma_f32 v165, v160, s4, -v165
	;; [unrolled: 4-line block ×8, first 2 shown]
	v_add_f32_e32 v143, v144, v156
	v_sub_f32_e32 v144, v144, v156
	v_add_f32_e32 v162, v93, v162
	v_add_f32_e32 v161, v93, v161
	;; [unrolled: 1-line block ×17, first 2 shown]
	v_sub_f32_e32 v95, v95, v155
	v_mul_f32_e32 v155, 0xbf2c7751, v144
	v_fma_f32 v156, v94, s4, -v155
	v_add_f32_e32 v156, v156, v158
	v_mul_f32_e32 v158, 0xbf2c7751, v95
	v_fmac_f32_e32 v155, 0x3f3d2fb0, v94
	v_mov_b32_e32 v159, v158
	v_add_f32_e32 v155, v155, v157
	v_fma_f32 v157, v143, s4, -v158
	v_mul_f32_e32 v158, 0xbf7ee86f, v144
	v_fmac_f32_e32 v159, 0x3f3d2fb0, v143
	v_add_f32_e32 v157, v157, v161
	v_fma_f32 v160, v94, s2, -v158
	v_mul_f32_e32 v161, 0xbf7ee86f, v95
	v_fmac_f32_e32 v158, 0x3dbcf732, v94
	v_add_f32_e32 v159, v159, v162
	v_mov_b32_e32 v162, v161
	v_add_f32_e32 v158, v158, v163
	v_fma_f32 v161, v143, s2, -v161
	v_mul_f32_e32 v163, 0xbf4c4adb, v144
	v_add_f32_e32 v160, v160, v164
	v_fmac_f32_e32 v162, 0x3dbcf732, v143
	v_add_f32_e32 v161, v161, v165
	v_fma_f32 v164, v94, s13, -v163
	v_mul_f32_e32 v165, 0xbf4c4adb, v95
	v_fmac_f32_e32 v163, 0xbf1a4643, v94
	v_add_f32_e32 v162, v162, v166
	v_mov_b32_e32 v166, v165
	v_add_f32_e32 v163, v163, v167
	v_fma_f32 v165, v143, s13, -v165
	v_mul_f32_e32 v167, 0xbe3c28d5, v144
	v_add_f32_e32 v164, v164, v168
	;; [unrolled: 11-line block ×5, first 2 shown]
	v_fmac_f32_e32 v180, 0xbe8c1d8e, v143
	v_add_f32_e32 v179, v179, v183
	v_fma_f32 v182, v94, s3, -v181
	v_mul_f32_e32 v183, 0x3f65296c, v95
	v_mul_f32_e32 v95, 0x3eb8f4ab, v95
	v_add_f32_e32 v180, v180, v185
	v_add_f32_e32 v182, v182, v188
	v_mov_b32_e32 v185, v183
	v_fmac_f32_e32 v181, 0x3ee437d1, v94
	v_mul_f32_e32 v144, 0x3eb8f4ab, v144
	v_mov_b32_e32 v188, v95
	v_fmac_f32_e32 v185, 0x3ee437d1, v143
	v_add_f32_e32 v181, v181, v187
	v_fma_f32 v183, v143, s3, -v183
	v_fma_f32 v187, v94, s12, -v144
	v_fmac_f32_e32 v188, 0x3f6eb680, v143
	v_fmac_f32_e32 v144, 0x3f6eb680, v94
	v_fma_f32 v94, v143, s12, -v95
	v_sub_f32_e32 v143, v176, v154
	v_add_f32_e32 v92, v144, v92
	v_add_f32_e32 v93, v94, v93
	;; [unrolled: 1-line block ×3, first 2 shown]
	v_sub_f32_e32 v139, v139, v153
	v_mul_f32_e32 v144, 0xbf65296c, v143
	v_add_f32_e32 v95, v176, v154
	v_fma_f32 v153, v94, s3, -v144
	v_mul_f32_e32 v154, 0xbf65296c, v139
	v_add_f32_e32 v153, v153, v156
	v_mov_b32_e32 v156, v154
	v_fmac_f32_e32 v144, 0x3ee437d1, v94
	v_fmac_f32_e32 v156, 0x3ee437d1, v95
	v_add_f32_e32 v144, v144, v155
	v_fma_f32 v154, v95, s3, -v154
	v_mul_f32_e32 v155, 0xbf4c4adb, v143
	v_add_f32_e32 v156, v156, v159
	v_add_f32_e32 v154, v154, v157
	v_fma_f32 v157, v94, s13, -v155
	v_mul_f32_e32 v159, 0xbf4c4adb, v139
	v_add_f32_e32 v157, v157, v160
	v_mov_b32_e32 v160, v159
	v_fmac_f32_e32 v155, 0xbf1a4643, v94
	v_fmac_f32_e32 v160, 0xbf1a4643, v95
	v_add_f32_e32 v155, v155, v158
	v_fma_f32 v158, v95, s13, -v159
	v_mul_f32_e32 v159, 0x3e3c28d5, v143
	v_add_f32_e32 v160, v160, v162
	;; [unrolled: 11-line block ×5, first 2 shown]
	v_add_f32_e32 v170, v170, v173
	v_fma_f32 v173, v94, s12, -v171
	v_mul_f32_e32 v174, 0xbeb8f4ab, v139
	v_fmac_f32_e32 v171, 0x3f6eb680, v94
	v_mov_b32_e32 v176, v174
	v_add_f32_e32 v171, v171, v175
	v_fma_f32 v174, v95, s12, -v174
	v_mul_f32_e32 v175, 0xbf7ee86f, v143
	v_add_f32_e32 v173, v173, v178
	v_add_f32_e32 v174, v174, v179
	v_fma_f32 v178, v94, s2, -v175
	v_mul_f32_e32 v179, 0xbf7ee86f, v139
	v_fmac_f32_e32 v175, 0x3dbcf732, v94
	v_mul_f32_e32 v143, 0xbf06c442, v143
	v_mul_f32_e32 v139, 0xbf06c442, v139
	v_add_f32_e32 v175, v175, v181
	v_fma_f32 v181, v94, s14, -v143
	v_fmac_f32_e32 v143, 0xbf59a7d5, v94
	v_fma_f32 v94, v95, s14, -v139
	v_add_f32_e32 v178, v178, v182
	v_mov_b32_e32 v182, v139
	v_add_f32_e32 v93, v94, v93
	v_add_f32_e32 v94, v140, v152
	v_sub_f32_e32 v139, v140, v152
	v_sub_f32_e32 v140, v177, v186
	v_fmac_f32_e32 v176, 0x3f6eb680, v95
	v_add_f32_e32 v92, v143, v92
	v_mul_f32_e32 v143, 0xbf7ee86f, v140
	v_add_f32_e32 v176, v176, v180
	v_mov_b32_e32 v180, v179
	v_fma_f32 v152, v94, s2, -v143
	v_fmac_f32_e32 v180, 0x3dbcf732, v95
	v_fma_f32 v179, v95, s2, -v179
	v_fmac_f32_e32 v182, 0xbf59a7d5, v95
	v_add_f32_e32 v95, v177, v186
	v_add_f32_e32 v152, v152, v153
	v_mul_f32_e32 v153, 0xbf7ee86f, v139
	v_fmac_f32_e32 v143, 0x3dbcf732, v94
	v_mov_b32_e32 v177, v153
	v_add_f32_e32 v143, v143, v144
	v_fma_f32 v144, v95, s2, -v153
	v_mul_f32_e32 v153, 0xbe3c28d5, v140
	v_add_f32_e32 v144, v144, v154
	v_fma_f32 v154, v94, s15, -v153
	v_fmac_f32_e32 v177, 0x3dbcf732, v95
	v_add_f32_e32 v154, v154, v157
	v_mul_f32_e32 v157, 0xbe3c28d5, v139
	v_fmac_f32_e32 v153, 0xbf7ba420, v94
	v_add_f32_e32 v156, v177, v156
	v_mov_b32_e32 v177, v157
	v_add_f32_e32 v153, v153, v155
	v_fma_f32 v155, v95, s15, -v157
	v_mul_f32_e32 v157, 0x3f763a35, v140
	v_add_f32_e32 v155, v155, v158
	v_fma_f32 v158, v94, s5, -v157
	v_fmac_f32_e32 v177, 0xbf7ba420, v95
	v_add_f32_e32 v158, v158, v161
	v_mul_f32_e32 v161, 0x3f763a35, v139
	v_fmac_f32_e32 v157, 0xbe8c1d8e, v94
	v_add_f32_e32 v160, v177, v160
	;; [unrolled: 11-line block ×4, first 2 shown]
	v_mov_b32_e32 v177, v169
	v_add_f32_e32 v165, v165, v167
	v_fma_f32 v167, v95, s3, -v169
	v_mul_f32_e32 v169, 0xbf06c442, v140
	v_add_f32_e32 v167, v167, v170
	v_fma_f32 v170, v94, s14, -v169
	v_fmac_f32_e32 v177, 0x3ee437d1, v95
	v_add_f32_e32 v170, v170, v173
	v_mul_f32_e32 v173, 0xbf06c442, v139
	v_add_f32_e32 v172, v177, v172
	v_mov_b32_e32 v177, v173
	v_fmac_f32_e32 v169, 0xbf59a7d5, v94
	v_fmac_f32_e32 v177, 0xbf59a7d5, v95
	v_add_f32_e32 v169, v169, v171
	v_fma_f32 v171, v95, s14, -v173
	v_mul_f32_e32 v173, 0x3f4c4adb, v140
	v_add_f32_e32 v183, v183, v189
	v_add_f32_e32 v176, v177, v176
	;; [unrolled: 1-line block ×3, first 2 shown]
	v_fma_f32 v174, v94, s13, -v173
	v_mul_f32_e32 v177, 0x3f4c4adb, v139
	v_fmac_f32_e32 v173, 0xbf1a4643, v94
	v_add_f32_e32 v179, v179, v183
	v_add_f32_e32 v173, v173, v175
	v_fma_f32 v175, v95, s13, -v177
	v_mul_f32_e32 v139, 0x3f2c7751, v139
	v_add_f32_e32 v174, v174, v178
	v_mov_b32_e32 v178, v177
	v_add_f32_e32 v175, v175, v179
	v_mul_f32_e32 v140, 0x3f2c7751, v140
	v_mov_b32_e32 v179, v139
	v_fmac_f32_e32 v178, 0xbf1a4643, v95
	v_fma_f32 v177, v94, s4, -v140
	v_fmac_f32_e32 v179, 0x3f3d2fb0, v95
	v_fmac_f32_e32 v140, 0x3f3d2fb0, v94
	v_fma_f32 v94, v95, s4, -v139
	v_add_f32_e32 v95, v91, v184
	v_sub_f32_e32 v91, v91, v184
	v_add_f32_e32 v92, v140, v92
	v_add_f32_e32 v93, v94, v93
	;; [unrolled: 1-line block ×3, first 2 shown]
	v_sub_f32_e32 v139, v141, v142
	v_mul_f32_e32 v140, 0xbf763a35, v91
	v_fma_f32 v141, v94, s5, -v140
	v_mul_f32_e32 v142, 0xbf763a35, v139
	v_fmac_f32_e32 v140, 0xbe8c1d8e, v94
	v_add_f32_e32 v141, v141, v152
	v_mov_b32_e32 v152, v142
	v_add_f32_e32 v140, v140, v143
	v_fma_f32 v142, v95, s5, -v142
	v_mul_f32_e32 v143, 0x3f06c442, v91
	v_add_f32_e32 v142, v142, v144
	v_fma_f32 v144, v94, s14, -v143
	v_fmac_f32_e32 v152, 0xbe8c1d8e, v95
	v_add_f32_e32 v144, v144, v154
	v_mul_f32_e32 v154, 0x3f06c442, v139
	v_fmac_f32_e32 v143, 0xbf59a7d5, v94
	v_add_f32_e32 v152, v152, v156
	v_mov_b32_e32 v156, v154
	v_add_f32_e32 v143, v143, v153
	v_fma_f32 v153, v95, s14, -v154
	v_mul_f32_e32 v154, 0x3f2c7751, v91
	v_add_f32_e32 v153, v153, v155
	v_fma_f32 v155, v94, s4, -v154
	v_fmac_f32_e32 v156, 0xbf59a7d5, v95
	v_add_f32_e32 v155, v155, v158
	;; [unrolled: 11-line block ×6, first 2 shown]
	v_mul_f32_e32 v174, 0xbeb8f4ab, v139
	v_fmac_f32_e32 v170, 0x3f6eb680, v94
	v_mul_f32_e32 v91, 0xbf4c4adb, v91
	v_add_f32_e32 v172, v172, v176
	v_mov_b32_e32 v176, v174
	v_add_f32_e32 v170, v170, v173
	v_fma_f32 v173, v95, s12, -v174
	v_fma_f32 v174, v94, s13, -v91
	v_mul_f32_e32 v139, 0xbf4c4adb, v139
	v_fmac_f32_e32 v91, 0xbf1a4643, v94
	v_add_f32_e32 v91, v91, v92
	v_fma_f32 v92, v95, s13, -v139
	v_add_f32_e32 v94, v87, v88
	v_sub_f32_e32 v87, v87, v88
	v_add_f32_e32 v173, v173, v175
	v_mov_b32_e32 v175, v139
	v_add_f32_e32 v92, v92, v93
	v_add_f32_e32 v93, v89, v90
	v_sub_f32_e32 v89, v89, v90
	v_mul_f32_e32 v88, 0xbf4c4adb, v87
	v_fmac_f32_e32 v176, 0x3f6eb680, v95
	v_fmac_f32_e32 v175, 0xbf1a4643, v95
	v_fma_f32 v90, v93, s13, -v88
	v_mul_f32_e32 v95, 0xbf4c4adb, v89
	v_fmac_f32_e32 v88, 0xbf1a4643, v93
	v_mov_b32_e32 v139, v95
	v_add_f32_e32 v88, v88, v140
	v_fma_f32 v95, v94, s13, -v95
	v_mul_f32_e32 v140, 0x3f763a35, v87
	v_add_f32_e32 v90, v90, v141
	v_add_f32_e32 v95, v95, v142
	v_fma_f32 v141, v93, s5, -v140
	v_mul_f32_e32 v142, 0x3f763a35, v89
	v_fmac_f32_e32 v140, 0xbe8c1d8e, v93
	v_fmac_f32_e32 v139, 0xbf1a4643, v94
	v_add_f32_e32 v141, v141, v144
	v_mov_b32_e32 v144, v142
	v_add_f32_e32 v140, v140, v143
	v_fma_f32 v142, v94, s5, -v142
	v_mul_f32_e32 v143, 0xbeb8f4ab, v87
	v_add_f32_e32 v139, v139, v152
	v_add_f32_e32 v142, v142, v153
	v_fma_f32 v152, v93, s12, -v143
	v_mul_f32_e32 v153, 0xbeb8f4ab, v89
	v_fmac_f32_e32 v143, 0x3f6eb680, v93
	v_fmac_f32_e32 v144, 0xbe8c1d8e, v94
	v_add_f32_e32 v152, v152, v155
	;; [unrolled: 11-line block ×4, first 2 shown]
	v_mov_b32_e32 v163, v161
	v_add_f32_e32 v158, v158, v162
	v_fma_f32 v161, v94, s2, -v161
	v_mul_f32_e32 v162, 0xbf2c7751, v87
	v_add_f32_e32 v159, v159, v164
	v_add_f32_e32 v161, v161, v165
	v_fma_f32 v164, v93, s4, -v162
	v_mul_f32_e32 v165, 0xbf2c7751, v89
	v_add_f32_e32 v164, v164, v167
	v_mov_b32_e32 v167, v165
	v_fmac_f32_e32 v162, 0x3f3d2fb0, v93
	v_fma_f32 v165, v94, s4, -v165
	v_fmac_f32_e32 v163, 0x3dbcf732, v94
	v_fmac_f32_e32 v167, 0x3f3d2fb0, v94
	v_add_f32_e32 v162, v162, v166
	v_add_f32_e32 v165, v165, v169
	v_mul_f32_e32 v166, 0xbe3c28d5, v87
	v_mul_f32_e32 v169, 0xbe3c28d5, v89
	;; [unrolled: 1-line block ×3, first 2 shown]
	v_add_f32_e32 v163, v163, v168
	v_add_f32_e32 v167, v167, v172
	v_fma_f32 v168, v93, s15, -v166
	v_fmac_f32_e32 v166, 0xbf7ba420, v93
	v_mul_f32_e32 v87, 0x3f65296c, v87
	v_mov_b32_e32 v172, v89
	v_fma_f32 v89, v94, s3, -v89
	v_add_f32_e32 v166, v166, v170
	v_fma_f32 v170, v93, s3, -v87
	v_fmac_f32_e32 v87, 0x3ee437d1, v93
	v_add_f32_e32 v89, v89, v92
	v_add_f32_e32 v92, v83, v84
	v_sub_f32_e32 v83, v83, v84
	v_add_f32_e32 v87, v87, v91
	v_add_f32_e32 v91, v85, v86
	v_mul_f32_e32 v84, 0xbf06c442, v83
	v_sub_f32_e32 v85, v85, v86
	v_fma_f32 v86, v91, s14, -v84
	v_add_f32_e32 v86, v86, v90
	v_mul_f32_e32 v90, 0xbf06c442, v85
	v_fmac_f32_e32 v84, 0xbf59a7d5, v91
	v_add_f32_e32 v88, v84, v88
	v_fma_f32 v84, v92, s14, -v90
	v_add_f32_e32 v168, v168, v171
	v_mov_b32_e32 v171, v169
	v_mov_b32_e32 v93, v90
	v_add_f32_e32 v90, v84, v95
	v_mul_f32_e32 v84, 0x3f65296c, v83
	v_fmac_f32_e32 v171, 0xbf7ba420, v94
	v_fma_f32 v169, v94, s15, -v169
	v_fmac_f32_e32 v172, 0x3ee437d1, v94
	v_fma_f32 v94, v91, s3, -v84
	v_mul_f32_e32 v95, 0x3f65296c, v85
	v_fmac_f32_e32 v84, 0x3ee437d1, v91
	v_fmac_f32_e32 v93, 0xbf59a7d5, v92
	v_add_f32_e32 v140, v84, v140
	v_fma_f32 v84, v92, s3, -v95
	v_add_f32_e32 v93, v93, v139
	v_mov_b32_e32 v139, v95
	v_add_f32_e32 v95, v84, v142
	v_mul_f32_e32 v84, 0xbf7ee86f, v83
	v_add_f32_e32 v94, v94, v141
	v_fma_f32 v141, v91, s2, -v84
	v_mul_f32_e32 v142, 0xbf7ee86f, v85
	v_fmac_f32_e32 v84, 0x3dbcf732, v91
	v_fmac_f32_e32 v139, 0x3ee437d1, v92
	v_add_f32_e32 v143, v84, v143
	v_fma_f32 v84, v92, s2, -v142
	v_add_f32_e32 v139, v139, v144
	v_mov_b32_e32 v144, v142
	v_add_f32_e32 v142, v84, v153
	v_mul_f32_e32 v84, 0x3f4c4adb, v83
	v_add_f32_e32 v141, v141, v152
	v_fma_f32 v152, v91, s13, -v84
	v_mul_f32_e32 v153, 0x3f4c4adb, v85
	v_fmac_f32_e32 v84, 0xbf1a4643, v91
	v_fmac_f32_e32 v144, 0x3dbcf732, v92
	v_add_f32_e32 v154, v84, v154
	v_fma_f32 v84, v92, s13, -v153
	v_add_f32_e32 v144, v144, v155
	v_mov_b32_e32 v155, v153
	v_add_f32_e32 v153, v84, v157
	v_mul_f32_e32 v84, 0xbeb8f4ab, v83
	v_add_f32_e32 v152, v152, v156
	v_fma_f32 v156, v91, s12, -v84
	v_mul_f32_e32 v157, 0xbeb8f4ab, v85
	v_fmac_f32_e32 v84, 0x3f6eb680, v91
	v_fmac_f32_e32 v155, 0xbf1a4643, v92
	v_add_f32_e32 v158, v84, v158
	v_fma_f32 v84, v92, s12, -v157
	v_add_f32_e32 v155, v155, v159
	v_mov_b32_e32 v159, v157
	v_add_f32_e32 v157, v84, v161
	v_mul_f32_e32 v84, 0xbe3c28d5, v83
	v_add_f32_e32 v156, v156, v160
	v_fma_f32 v160, v91, s15, -v84
	v_mul_f32_e32 v161, 0xbe3c28d5, v85
	v_fmac_f32_e32 v84, 0xbf7ba420, v91
	v_add_f32_e32 v187, v187, v191
	v_fmac_f32_e32 v159, 0x3f6eb680, v92
	v_add_f32_e32 v162, v84, v162
	v_fma_f32 v84, v92, s15, -v161
	v_add_f32_e32 v181, v181, v187
	v_add_f32_e32 v159, v159, v163
	v_mov_b32_e32 v163, v161
	v_add_f32_e32 v161, v84, v165
	v_mul_f32_e32 v84, 0x3f2c7751, v83
	v_add_f32_e32 v177, v177, v181
	v_add_f32_e32 v160, v160, v164
	v_fma_f32 v164, v91, s4, -v84
	v_mul_f32_e32 v165, 0x3f2c7751, v85
	v_fmac_f32_e32 v84, 0x3f3d2fb0, v91
	v_add_f32_e32 v188, v188, v192
	v_add_f32_e32 v174, v174, v177
	;; [unrolled: 1-line block ×3, first 2 shown]
	v_fmac_f32_e32 v163, 0xbf7ba420, v92
	v_add_f32_e32 v166, v84, v166
	v_fma_f32 v84, v92, s4, -v165
	v_mul_f32_e32 v83, 0xbf763a35, v83
	v_add_f32_e32 v182, v182, v188
	v_add_f32_e32 v170, v170, v174
	v_add_f32_e32 v163, v163, v167
	v_mov_b32_e32 v167, v165
	v_add_f32_e32 v165, v84, v169
	v_fma_f32 v84, v91, s5, -v83
	v_add_f32_e32 v185, v185, v190
	v_add_f32_e32 v179, v179, v182
	;; [unrolled: 1-line block ×4, first 2 shown]
	v_mul_f32_e32 v84, 0xbf763a35, v85
	v_add_f32_e32 v180, v180, v185
	v_add_f32_e32 v175, v175, v179
	v_mov_b32_e32 v85, v84
	v_add_f32_e32 v178, v178, v180
	v_add_f32_e32 v172, v172, v175
	v_fmac_f32_e32 v85, 0xbe8c1d8e, v92
	v_add_f32_e32 v173, v75, v77
	v_sub_f32_e32 v75, v75, v77
	v_add_f32_e32 v176, v176, v178
	v_add_f32_e32 v169, v85, v172
	v_fmac_f32_e32 v83, 0xbe8c1d8e, v91
	v_add_f32_e32 v172, v79, v81
	v_mul_f32_e32 v77, 0xbe3c28d5, v75
	v_add_f32_e32 v171, v171, v176
	v_fmac_f32_e32 v167, 0x3f3d2fb0, v92
	v_add_f32_e32 v170, v83, v87
	v_fma_f32 v83, v92, s5, -v84
	v_sub_f32_e32 v79, v79, v81
	v_fma_f32 v81, v172, s15, -v77
	v_add_f32_e32 v167, v167, v171
	v_add_f32_e32 v171, v83, v89
	;; [unrolled: 1-line block ×3, first 2 shown]
	v_mul_f32_e32 v81, 0xbe3c28d5, v79
	v_fmac_f32_e32 v77, 0xbf7ba420, v172
	v_add_f32_e32 v85, v77, v88
	v_fma_f32 v77, v173, s15, -v81
	v_add_f32_e32 v86, v77, v90
	v_mul_f32_e32 v77, 0x3eb8f4ab, v75
	v_mov_b32_e32 v84, v81
	v_fma_f32 v81, v172, s12, -v77
	v_add_f32_e32 v87, v81, v94
	v_mul_f32_e32 v81, 0x3eb8f4ab, v79
	v_fmac_f32_e32 v77, 0x3f6eb680, v172
	v_add_f32_e32 v89, v77, v140
	v_fma_f32 v77, v173, s12, -v81
	v_add_f32_e32 v90, v77, v95
	v_mul_f32_e32 v77, 0xbf06c442, v75
	v_mov_b32_e32 v88, v81
	v_fma_f32 v81, v172, s14, -v77
	v_fmac_f32_e32 v84, 0xbf7ba420, v173
	v_add_f32_e32 v91, v81, v141
	v_mul_f32_e32 v81, 0xbf06c442, v79
	v_fmac_f32_e32 v77, 0xbf59a7d5, v172
	v_add_f32_e32 v84, v84, v93
	v_add_f32_e32 v93, v77, v143
	v_fma_f32 v77, v173, s14, -v81
	v_add_f32_e32 v94, v77, v142
	v_mul_f32_e32 v77, 0x3f2c7751, v75
	v_fmac_f32_e32 v88, 0x3f6eb680, v173
	v_mov_b32_e32 v92, v81
	v_fma_f32 v81, v172, s4, -v77
	v_add_f32_e32 v88, v88, v139
	v_add_f32_e32 v139, v81, v152
	v_mul_f32_e32 v81, 0x3f2c7751, v79
	v_fmac_f32_e32 v77, 0x3f3d2fb0, v172
	v_add_f32_e32 v141, v77, v154
	v_fma_f32 v77, v173, s4, -v81
	v_add_f32_e32 v142, v77, v153
	v_mul_f32_e32 v77, 0xbf4c4adb, v75
	v_mov_b32_e32 v95, v81
	v_fma_f32 v81, v172, s13, -v77
	v_add_f32_e32 v143, v81, v156
	v_mul_f32_e32 v81, 0xbf4c4adb, v79
	v_fmac_f32_e32 v77, 0xbf1a4643, v172
	v_add_f32_e32 v152, v77, v158
	v_fma_f32 v77, v173, s13, -v81
	v_fmac_f32_e32 v95, 0x3f3d2fb0, v173
	v_add_f32_e32 v153, v77, v157
	v_mul_f32_e32 v77, 0x3f65296c, v75
	v_add_f32_e32 v140, v95, v155
	v_mov_b32_e32 v95, v81
	v_fma_f32 v81, v172, s3, -v77
	v_add_f32_e32 v154, v81, v160
	v_mul_f32_e32 v81, 0x3f65296c, v79
	v_fmac_f32_e32 v77, 0x3ee437d1, v172
	v_add_f32_e32 v156, v77, v162
	v_fma_f32 v77, v173, s3, -v81
	v_fmac_f32_e32 v92, 0xbf59a7d5, v173
	v_fmac_f32_e32 v95, 0xbf1a4643, v173
	v_add_f32_e32 v157, v77, v161
	v_mul_f32_e32 v77, 0xbf763a35, v75
	v_add_f32_e32 v92, v92, v144
	v_add_f32_e32 v144, v95, v159
	v_mov_b32_e32 v95, v81
	v_fma_f32 v81, v172, s5, -v77
	v_add_f32_e32 v158, v81, v164
	v_mul_f32_e32 v81, 0xbf763a35, v79
	v_fmac_f32_e32 v77, 0xbe8c1d8e, v172
	v_add_f32_e32 v160, v77, v166
	v_fma_f32 v77, v173, s5, -v81
	v_mul_f32_e32 v75, 0x3f7ee86f, v75
	v_add_f32_e32 v161, v77, v165
	v_fma_f32 v77, v172, s2, -v75
	v_fmac_f32_e32 v95, 0x3ee437d1, v173
	v_add_f32_e32 v162, v77, v168
	v_mul_f32_e32 v77, 0x3f7ee86f, v79
	v_add_f32_e32 v155, v95, v163
	v_mov_b32_e32 v95, v81
	v_mov_b32_e32 v79, v77
	v_fmac_f32_e32 v75, 0x3dbcf732, v172
	v_fmac_f32_e32 v95, 0xbe8c1d8e, v173
	v_fmac_f32_e32 v79, 0x3dbcf732, v173
	v_add_f32_e32 v164, v75, v170
	v_fma_f32 v75, v173, s2, -v77
	v_add_f32_e32 v159, v95, v167
	v_add_f32_e32 v163, v79, v169
	;; [unrolled: 1-line block ×3, first 2 shown]
	ds_write2_b64 v145, v[68:69], v[83:84] offset1:119
	ds_write2_b64 v73, v[87:88], v[91:92] offset0:110 offset1:229
	ds_write2_b64 v72, v[139:140], v[143:144] offset0:92 offset1:211
	;; [unrolled: 1-line block ×7, first 2 shown]
	ds_write_b64 v145, v[85:86] offset:15232
	v_add_co_u32_e64 v68, s[0:1], s16, v78
	v_addc_co_u32_e64 v69, s[0:1], 0, v74, s[0:1]
	s_waitcnt lgkmcnt(0)
	s_barrier
	global_load_dwordx2 v[68:69], v[68:69], off offset:3896
	v_add_co_u32_e64 v83, s[0:1], s17, v78
	v_addc_co_u32_e64 v84, s[0:1], 0, v74, s[0:1]
	global_load_dwordx2 v[87:88], v[83:84], off offset:952
	global_load_dwordx2 v[89:90], v[83:84], off offset:1904
	global_load_dwordx2 v[91:92], v[83:84], off offset:2856
	global_load_dwordx2 v[93:94], v[83:84], off offset:3808
	s_movk_i32 s0, 0x5000
	v_add_co_u32_e64 v83, s[0:1], s0, v78
	v_addc_co_u32_e64 v84, s[0:1], 0, v74, s[0:1]
	global_load_dwordx2 v[139:140], v[83:84], off offset:464
	global_load_dwordx2 v[141:142], v[83:84], off offset:1416
	global_load_dwordx2 v[143:144], v[83:84], off offset:2368
	global_load_dwordx2 v[152:153], v[83:84], off offset:3320
	s_movk_i32 s0, 0x6000
	v_add_co_u32_e64 v154, s[0:1], s0, v78
	v_addc_co_u32_e64 v155, s[0:1], 0, v74, s[0:1]
	global_load_dwordx2 v[156:157], v[154:155], off offset:176
	global_load_dwordx2 v[158:159], v[154:155], off offset:1128
	global_load_dwordx2 v[160:161], v[154:155], off offset:2080
	global_load_dwordx2 v[162:163], v[154:155], off offset:3032
	s_movk_i32 s0, 0x7000
	global_load_dwordx2 v[154:155], v[154:155], off offset:3984
	v_add_co_u32_e64 v77, s[0:1], s0, v78
	ds_read2_b64 v[83:86], v145 offset1:119
	v_addc_co_u32_e64 v78, s[0:1], 0, v74, s[0:1]
	global_load_dwordx2 v[74:75], v[77:78], off offset:840
	global_load_dwordx2 v[164:165], v[77:78], off offset:1792
	s_waitcnt vmcnt(15) lgkmcnt(0)
	v_mul_f32_e32 v79, v84, v69
	v_mul_f32_e32 v167, v83, v69
	v_fma_f32 v166, v83, v68, -v79
	v_fmac_f32_e32 v167, v84, v68
	global_load_dwordx2 v[68:69], v[77:78], off offset:2744
	s_waitcnt vmcnt(15)
	v_mul_f32_e32 v79, v86, v88
	v_mul_f32_e32 v78, v85, v88
	v_fma_f32 v77, v85, v87, -v79
	v_fmac_f32_e32 v78, v86, v87
	ds_write2_b64 v145, v[166:167], v[77:78] offset1:119
	ds_read2_b64 v[83:86], v73 offset0:110 offset1:229
	s_waitcnt vmcnt(14) lgkmcnt(0)
	v_mul_f32_e32 v77, v84, v90
	v_mul_f32_e32 v78, v83, v90
	v_fma_f32 v77, v83, v89, -v77
	v_fmac_f32_e32 v78, v84, v89
	ds_read2_b64 v[87:90], v72 offset0:92 offset1:211
	s_waitcnt vmcnt(13)
	v_mul_f32_e32 v79, v86, v92
	v_mul_f32_e32 v84, v85, v92
	v_fma_f32 v83, v85, v91, -v79
	v_fmac_f32_e32 v84, v86, v91
	ds_write2_b64 v73, v[77:78], v[83:84] offset0:110 offset1:229
	ds_read2_b64 v[83:86], v71 offset0:74 offset1:193
	s_waitcnt vmcnt(12) lgkmcnt(2)
	v_mul_f32_e32 v78, v87, v94
	v_mul_f32_e32 v77, v88, v94
	v_fmac_f32_e32 v78, v88, v93
	s_waitcnt vmcnt(11)
	v_mul_f32_e32 v79, v90, v140
	v_mul_f32_e32 v88, v89, v140
	v_fma_f32 v77, v87, v93, -v77
	v_fma_f32 v87, v89, v139, -v79
	v_fmac_f32_e32 v88, v90, v139
	ds_write2_b64 v72, v[77:78], v[87:88] offset0:92 offset1:211
	s_waitcnt vmcnt(10) lgkmcnt(1)
	v_mul_f32_e32 v78, v83, v142
	ds_read2_b64 v[87:90], v70 offset0:56 offset1:175
	v_mul_f32_e32 v77, v84, v142
	v_fmac_f32_e32 v78, v84, v141
	s_waitcnt vmcnt(9)
	v_mul_f32_e32 v79, v86, v144
	v_mul_f32_e32 v84, v85, v144
	v_fma_f32 v77, v83, v141, -v77
	v_fma_f32 v83, v85, v143, -v79
	v_fmac_f32_e32 v84, v86, v143
	ds_write2_b64 v71, v[77:78], v[83:84] offset0:74 offset1:193
	ds_read2_b64 v[83:86], v76 offset0:38 offset1:157
	s_waitcnt vmcnt(8) lgkmcnt(2)
	v_mul_f32_e32 v78, v87, v153
	v_mul_f32_e32 v77, v88, v153
	v_fmac_f32_e32 v78, v88, v152
	s_waitcnt vmcnt(7)
	v_mul_f32_e32 v79, v90, v157
	v_mul_f32_e32 v88, v89, v157
	v_fma_f32 v77, v87, v152, -v77
	v_fma_f32 v87, v89, v156, -v79
	v_fmac_f32_e32 v88, v90, v156
	ds_write2_b64 v70, v[77:78], v[87:88] offset0:56 offset1:175
	s_waitcnt vmcnt(6) lgkmcnt(1)
	v_mul_f32_e32 v78, v83, v159
	ds_read2_b64 v[87:90], v151 offset0:20 offset1:139
	v_mul_f32_e32 v77, v84, v159
	v_fmac_f32_e32 v78, v84, v158
	s_waitcnt vmcnt(5)
	v_mul_f32_e32 v79, v86, v161
	v_mul_f32_e32 v84, v85, v161
	v_fma_f32 v77, v83, v158, -v77
	v_fma_f32 v83, v85, v160, -v79
	v_fmac_f32_e32 v84, v86, v160
	ds_write2_b64 v76, v[77:78], v[83:84] offset0:38 offset1:157
	ds_read2_b64 v[83:86], v80 offset0:130 offset1:249
	s_waitcnt vmcnt(4) lgkmcnt(2)
	v_mul_f32_e32 v78, v87, v163
	v_mul_f32_e32 v77, v88, v163
	v_fmac_f32_e32 v78, v88, v162
	s_waitcnt vmcnt(3)
	v_mul_f32_e32 v79, v90, v155
	v_mul_f32_e32 v88, v89, v155
	v_fma_f32 v77, v87, v162, -v77
	v_fma_f32 v87, v89, v154, -v79
	v_fmac_f32_e32 v88, v90, v154
	ds_write2_b64 v151, v[77:78], v[87:88] offset0:20 offset1:139
	s_waitcnt vmcnt(2) lgkmcnt(1)
	v_mul_f32_e32 v77, v84, v75
	v_mul_f32_e32 v78, v83, v75
	v_fma_f32 v77, v83, v74, -v77
	v_fmac_f32_e32 v78, v84, v74
	ds_read_b64 v[74:75], v145 offset:15232
	s_waitcnt vmcnt(1)
	v_mul_f32_e32 v79, v86, v165
	v_mul_f32_e32 v84, v85, v165
	v_fma_f32 v83, v85, v164, -v79
	v_fmac_f32_e32 v84, v86, v164
	ds_write2_b64 v80, v[77:78], v[83:84] offset0:130 offset1:249
	s_waitcnt vmcnt(0) lgkmcnt(1)
	v_mul_f32_e32 v77, v75, v69
	v_mul_f32_e32 v78, v74, v69
	v_fma_f32 v77, v74, v68, -v77
	v_fmac_f32_e32 v78, v75, v68
	ds_write_b64 v145, v[77:78] offset:15232
	s_waitcnt lgkmcnt(0)
	s_barrier
	ds_read2_b64 v[83:86], v145 offset1:119
	ds_read2_b64 v[87:90], v73 offset0:110 offset1:229
	ds_read2_b64 v[91:94], v72 offset0:92 offset1:211
	ds_read2_b64 v[72:75], v71 offset0:74 offset1:193
	ds_read2_b64 v[68:71], v70 offset0:56 offset1:175
	ds_read2_b64 v[76:79], v76 offset0:38 offset1:157
	ds_read2_b64 v[139:142], v151 offset0:20 offset1:139
	ds_read2_b64 v[152:155], v80 offset0:130 offset1:249
	ds_read_b64 v[143:144], v145 offset:15232
	s_waitcnt lgkmcnt(8)
	v_add_f32_e32 v80, v83, v85
	v_add_f32_e32 v81, v84, v86
	s_waitcnt lgkmcnt(7)
	v_add_f32_e32 v80, v80, v87
	v_add_f32_e32 v81, v81, v88
	v_add_f32_e32 v80, v80, v89
	v_add_f32_e32 v81, v81, v90
	s_waitcnt lgkmcnt(6)
	v_add_f32_e32 v80, v80, v91
	v_add_f32_e32 v81, v81, v92
	;; [unrolled: 5-line block ×7, first 2 shown]
	v_add_f32_e32 v80, v80, v154
	s_waitcnt lgkmcnt(0)
	v_add_f32_e32 v156, v144, v86
	v_sub_f32_e32 v86, v86, v144
	v_add_f32_e32 v81, v81, v155
	v_add_f32_e32 v80, v80, v143
	;; [unrolled: 1-line block ×3, first 2 shown]
	v_sub_f32_e32 v85, v85, v143
	v_mul_f32_e32 v143, 0xbeb8f4ab, v86
	v_mul_f32_e32 v159, 0xbf2c7751, v86
	;; [unrolled: 1-line block ×8, first 2 shown]
	v_add_f32_e32 v81, v81, v144
	v_mov_b32_e32 v144, v143
	v_mov_b32_e32 v160, v159
	;; [unrolled: 1-line block ×8, first 2 shown]
	v_fmac_f32_e32 v144, 0x3f6eb680, v95
	v_fma_f32 v143, v95, s12, -v143
	v_fmac_f32_e32 v160, 0x3f3d2fb0, v95
	v_fma_f32 v159, v95, s4, -v159
	;; [unrolled: 2-line block ×8, first 2 shown]
	v_add_f32_e32 v144, v83, v144
	v_mul_f32_e32 v157, 0x3f6eb680, v156
	v_add_f32_e32 v143, v83, v143
	v_add_f32_e32 v160, v83, v160
	v_mul_f32_e32 v161, 0x3f3d2fb0, v156
	v_add_f32_e32 v159, v83, v159
	v_add_f32_e32 v164, v83, v164
	v_mul_f32_e32 v165, 0x3ee437d1, v156
	v_add_f32_e32 v163, v83, v163
	v_add_f32_e32 v168, v83, v168
	v_mul_f32_e32 v169, 0x3dbcf732, v156
	v_add_f32_e32 v167, v83, v167
	v_add_f32_e32 v172, v83, v172
	v_mul_f32_e32 v173, 0xbe8c1d8e, v156
	v_add_f32_e32 v171, v83, v171
	v_add_f32_e32 v176, v83, v176
	v_mul_f32_e32 v177, 0xbf1a4643, v156
	v_add_f32_e32 v175, v83, v175
	v_add_f32_e32 v180, v83, v180
	v_mul_f32_e32 v181, 0xbf59a7d5, v156
	v_add_f32_e32 v179, v83, v179
	v_add_f32_e32 v183, v83, v183
	v_mul_f32_e32 v156, 0xbf7ba420, v156
	v_add_f32_e32 v83, v83, v86
	v_add_f32_e32 v86, v155, v88
	v_sub_f32_e32 v88, v88, v155
	v_mov_b32_e32 v158, v157
	v_mov_b32_e32 v162, v161
	;; [unrolled: 1-line block ×8, first 2 shown]
	v_mul_f32_e32 v95, 0xbf2c7751, v88
	v_fmac_f32_e32 v158, 0x3eb8f4ab, v85
	v_fmac_f32_e32 v157, 0xbeb8f4ab, v85
	;; [unrolled: 1-line block ×16, first 2 shown]
	v_add_f32_e32 v85, v154, v87
	v_sub_f32_e32 v87, v87, v154
	v_mov_b32_e32 v154, v95
	v_fmac_f32_e32 v154, 0x3f3d2fb0, v85
	v_add_f32_e32 v144, v154, v144
	v_mul_f32_e32 v154, 0x3f3d2fb0, v86
	v_add_f32_e32 v157, v84, v157
	v_mov_b32_e32 v155, v154
	v_fma_f32 v95, v85, s4, -v95
	v_fmac_f32_e32 v154, 0xbf2c7751, v87
	v_add_f32_e32 v95, v95, v143
	v_add_f32_e32 v143, v154, v157
	v_mul_f32_e32 v154, 0xbf7ee86f, v88
	v_add_f32_e32 v158, v84, v158
	v_add_f32_e32 v162, v84, v162
	;; [unrolled: 1-line block ×15, first 2 shown]
	v_mov_b32_e32 v156, v154
	v_fma_f32 v154, v85, s2, -v154
	v_fmac_f32_e32 v155, 0x3f2c7751, v87
	v_fmac_f32_e32 v156, 0x3dbcf732, v85
	v_mul_f32_e32 v157, 0x3dbcf732, v86
	v_add_f32_e32 v154, v154, v159
	v_mul_f32_e32 v159, 0xbf4c4adb, v88
	v_add_f32_e32 v155, v155, v158
	v_add_f32_e32 v156, v156, v160
	v_mov_b32_e32 v158, v157
	v_fmac_f32_e32 v157, 0xbf7ee86f, v87
	v_mov_b32_e32 v160, v159
	v_fma_f32 v159, v85, s13, -v159
	v_fmac_f32_e32 v158, 0x3f7ee86f, v87
	v_add_f32_e32 v157, v157, v161
	v_fmac_f32_e32 v160, 0xbf1a4643, v85
	v_mul_f32_e32 v161, 0xbf1a4643, v86
	v_add_f32_e32 v159, v159, v163
	v_mul_f32_e32 v163, 0xbe3c28d5, v88
	v_add_f32_e32 v158, v158, v162
	v_add_f32_e32 v160, v160, v164
	v_mov_b32_e32 v162, v161
	v_fmac_f32_e32 v161, 0xbf4c4adb, v87
	v_mov_b32_e32 v164, v163
	v_fma_f32 v163, v85, s15, -v163
	v_fmac_f32_e32 v162, 0x3f4c4adb, v87
	v_add_f32_e32 v161, v161, v165
	;; [unrolled: 12-line block ×4, first 2 shown]
	v_fmac_f32_e32 v172, 0xbe8c1d8e, v85
	v_mul_f32_e32 v173, 0xbe8c1d8e, v86
	v_add_f32_e32 v171, v171, v175
	v_mul_f32_e32 v175, 0x3f65296c, v88
	v_add_f32_e32 v170, v170, v174
	v_add_f32_e32 v172, v172, v176
	v_mov_b32_e32 v174, v173
	v_fmac_f32_e32 v173, 0x3f763a35, v87
	v_mov_b32_e32 v176, v175
	v_fma_f32 v175, v85, s3, -v175
	v_mul_f32_e32 v88, 0x3eb8f4ab, v88
	v_fmac_f32_e32 v174, 0xbf763a35, v87
	v_add_f32_e32 v173, v173, v177
	v_fmac_f32_e32 v176, 0x3ee437d1, v85
	v_mul_f32_e32 v177, 0x3ee437d1, v86
	v_add_f32_e32 v175, v175, v179
	v_mov_b32_e32 v179, v88
	v_mul_f32_e32 v86, 0x3f6eb680, v86
	v_add_f32_e32 v174, v174, v178
	v_add_f32_e32 v176, v176, v180
	v_mov_b32_e32 v178, v177
	v_fmac_f32_e32 v179, 0x3f6eb680, v85
	v_mov_b32_e32 v180, v86
	v_fma_f32 v85, v85, s12, -v88
	v_sub_f32_e32 v88, v90, v153
	v_fmac_f32_e32 v178, 0xbf65296c, v87
	v_fmac_f32_e32 v177, 0x3f65296c, v87
	;; [unrolled: 1-line block ×3, first 2 shown]
	v_add_f32_e32 v83, v85, v83
	v_fmac_f32_e32 v86, 0x3eb8f4ab, v87
	v_add_f32_e32 v85, v152, v89
	v_sub_f32_e32 v87, v89, v152
	v_mul_f32_e32 v89, 0xbf65296c, v88
	v_add_f32_e32 v84, v86, v84
	v_add_f32_e32 v86, v153, v90
	v_mov_b32_e32 v90, v89
	v_fmac_f32_e32 v90, 0x3ee437d1, v85
	v_add_f32_e32 v90, v90, v144
	v_mul_f32_e32 v144, 0x3ee437d1, v86
	v_mov_b32_e32 v152, v144
	v_fma_f32 v89, v85, s3, -v89
	v_fmac_f32_e32 v144, 0xbf65296c, v87
	v_add_f32_e32 v89, v89, v95
	v_add_f32_e32 v95, v144, v143
	v_mul_f32_e32 v143, 0xbf4c4adb, v88
	v_mov_b32_e32 v144, v143
	v_fma_f32 v143, v85, s13, -v143
	v_fmac_f32_e32 v152, 0x3f65296c, v87
	v_fmac_f32_e32 v144, 0xbf1a4643, v85
	v_mul_f32_e32 v153, 0xbf1a4643, v86
	v_add_f32_e32 v143, v143, v154
	v_mul_f32_e32 v154, 0x3e3c28d5, v88
	v_add_f32_e32 v152, v152, v155
	v_add_f32_e32 v144, v144, v156
	v_mov_b32_e32 v155, v153
	v_fmac_f32_e32 v153, 0xbf4c4adb, v87
	v_mov_b32_e32 v156, v154
	v_fma_f32 v154, v85, s15, -v154
	v_fmac_f32_e32 v155, 0x3f4c4adb, v87
	v_add_f32_e32 v153, v153, v157
	v_fmac_f32_e32 v156, 0xbf7ba420, v85
	v_mul_f32_e32 v157, 0xbf7ba420, v86
	v_add_f32_e32 v154, v154, v159
	v_mul_f32_e32 v159, 0x3f763a35, v88
	v_add_f32_e32 v155, v155, v158
	v_add_f32_e32 v156, v156, v160
	v_mov_b32_e32 v158, v157
	v_fmac_f32_e32 v157, 0x3e3c28d5, v87
	v_mov_b32_e32 v160, v159
	v_fma_f32 v159, v85, s5, -v159
	v_fmac_f32_e32 v158, 0xbe3c28d5, v87
	v_add_f32_e32 v157, v157, v161
	;; [unrolled: 12-line block ×4, first 2 shown]
	v_fmac_f32_e32 v168, 0x3f6eb680, v85
	v_mul_f32_e32 v169, 0x3f6eb680, v86
	v_add_f32_e32 v167, v167, v171
	v_mul_f32_e32 v171, 0xbf7ee86f, v88
	v_add_f32_e32 v166, v166, v170
	v_add_f32_e32 v168, v168, v172
	v_mov_b32_e32 v170, v169
	v_fmac_f32_e32 v169, 0xbeb8f4ab, v87
	v_mov_b32_e32 v172, v171
	v_fma_f32 v171, v85, s2, -v171
	v_mul_f32_e32 v88, 0xbf06c442, v88
	v_fmac_f32_e32 v170, 0x3eb8f4ab, v87
	v_add_f32_e32 v169, v169, v173
	v_fmac_f32_e32 v172, 0x3dbcf732, v85
	v_mul_f32_e32 v173, 0x3dbcf732, v86
	v_add_f32_e32 v171, v171, v175
	v_mov_b32_e32 v175, v88
	v_mul_f32_e32 v86, 0xbf59a7d5, v86
	v_add_f32_e32 v170, v170, v174
	v_add_f32_e32 v172, v172, v176
	v_mov_b32_e32 v174, v173
	v_fmac_f32_e32 v175, 0xbf59a7d5, v85
	v_mov_b32_e32 v176, v86
	v_fma_f32 v85, v85, s14, -v88
	v_sub_f32_e32 v88, v92, v142
	v_fmac_f32_e32 v174, 0x3f7ee86f, v87
	v_fmac_f32_e32 v173, 0xbf7ee86f, v87
	;; [unrolled: 1-line block ×3, first 2 shown]
	v_add_f32_e32 v83, v85, v83
	v_fmac_f32_e32 v86, 0xbf06c442, v87
	v_add_f32_e32 v85, v141, v91
	v_sub_f32_e32 v87, v91, v141
	v_mul_f32_e32 v91, 0xbf7ee86f, v88
	v_add_f32_e32 v84, v86, v84
	v_add_f32_e32 v86, v142, v92
	v_mov_b32_e32 v92, v91
	v_fmac_f32_e32 v92, 0x3dbcf732, v85
	v_add_f32_e32 v90, v92, v90
	v_mul_f32_e32 v92, 0x3dbcf732, v86
	v_mov_b32_e32 v141, v92
	v_fma_f32 v91, v85, s2, -v91
	v_fmac_f32_e32 v92, 0xbf7ee86f, v87
	v_add_f32_e32 v89, v91, v89
	v_add_f32_e32 v91, v92, v95
	v_mul_f32_e32 v92, 0xbe3c28d5, v88
	v_mov_b32_e32 v95, v92
	v_fma_f32 v92, v85, s15, -v92
	v_fmac_f32_e32 v141, 0x3f7ee86f, v87
	v_fmac_f32_e32 v95, 0xbf7ba420, v85
	v_mul_f32_e32 v142, 0xbf7ba420, v86
	v_add_f32_e32 v92, v92, v143
	v_mul_f32_e32 v143, 0x3f763a35, v88
	v_add_f32_e32 v141, v141, v152
	v_add_f32_e32 v95, v95, v144
	v_mov_b32_e32 v144, v142
	v_fmac_f32_e32 v142, 0xbe3c28d5, v87
	v_mov_b32_e32 v152, v143
	v_fma_f32 v143, v85, s5, -v143
	v_fmac_f32_e32 v144, 0x3e3c28d5, v87
	v_add_f32_e32 v142, v142, v153
	v_fmac_f32_e32 v152, 0xbe8c1d8e, v85
	v_mul_f32_e32 v153, 0xbe8c1d8e, v86
	v_add_f32_e32 v143, v143, v154
	v_mul_f32_e32 v154, 0x3eb8f4ab, v88
	v_add_f32_e32 v144, v144, v155
	v_add_f32_e32 v152, v152, v156
	v_mov_b32_e32 v155, v153
	v_fmac_f32_e32 v153, 0x3f763a35, v87
	v_mov_b32_e32 v156, v154
	v_fma_f32 v154, v85, s12, -v154
	v_fmac_f32_e32 v155, 0xbf763a35, v87
	v_add_f32_e32 v153, v153, v157
	v_fmac_f32_e32 v156, 0x3f6eb680, v85
	v_mul_f32_e32 v157, 0x3f6eb680, v86
	v_add_f32_e32 v154, v154, v159
	v_mul_f32_e32 v159, 0xbf65296c, v88
	v_add_f32_e32 v155, v155, v158
	v_add_f32_e32 v156, v156, v160
	v_mov_b32_e32 v158, v157
	v_fmac_f32_e32 v157, 0x3eb8f4ab, v87
	v_mov_b32_e32 v160, v159
	v_fma_f32 v159, v85, s3, -v159
	v_fmac_f32_e32 v158, 0xbeb8f4ab, v87
	v_add_f32_e32 v157, v157, v161
	v_fmac_f32_e32 v160, 0x3ee437d1, v85
	v_mul_f32_e32 v161, 0x3ee437d1, v86
	v_add_f32_e32 v159, v159, v163
	v_mul_f32_e32 v163, 0xbf06c442, v88
	v_add_f32_e32 v158, v158, v162
	v_add_f32_e32 v160, v160, v164
	v_mov_b32_e32 v162, v161
	v_fmac_f32_e32 v161, 0xbf65296c, v87
	v_mov_b32_e32 v164, v163
	v_fma_f32 v163, v85, s14, -v163
	v_fmac_f32_e32 v162, 0x3f65296c, v87
	v_add_f32_e32 v161, v161, v165
	v_fmac_f32_e32 v164, 0xbf59a7d5, v85
	v_mul_f32_e32 v165, 0xbf59a7d5, v86
	v_add_f32_e32 v163, v163, v167
	v_mul_f32_e32 v167, 0x3f4c4adb, v88
	v_add_f32_e32 v162, v162, v166
	v_add_f32_e32 v164, v164, v168
	v_mov_b32_e32 v166, v165
	v_fmac_f32_e32 v165, 0xbf06c442, v87
	v_mov_b32_e32 v168, v167
	v_fma_f32 v167, v85, s13, -v167
	v_mul_f32_e32 v88, 0x3f2c7751, v88
	v_fmac_f32_e32 v166, 0x3f06c442, v87
	v_add_f32_e32 v165, v165, v169
	v_fmac_f32_e32 v168, 0xbf1a4643, v85
	v_mul_f32_e32 v169, 0xbf1a4643, v86
	v_add_f32_e32 v167, v167, v171
	v_mov_b32_e32 v171, v88
	v_mul_f32_e32 v86, 0x3f3d2fb0, v86
	v_add_f32_e32 v166, v166, v170
	v_add_f32_e32 v168, v168, v172
	v_mov_b32_e32 v170, v169
	v_fmac_f32_e32 v171, 0x3f3d2fb0, v85
	v_mov_b32_e32 v172, v86
	v_fma_f32 v85, v85, s4, -v88
	v_sub_f32_e32 v88, v94, v140
	v_fmac_f32_e32 v170, 0xbf4c4adb, v87
	v_fmac_f32_e32 v169, 0x3f4c4adb, v87
	;; [unrolled: 1-line block ×3, first 2 shown]
	v_add_f32_e32 v83, v85, v83
	v_fmac_f32_e32 v86, 0x3f2c7751, v87
	v_add_f32_e32 v85, v139, v93
	v_sub_f32_e32 v87, v93, v139
	v_mul_f32_e32 v93, 0xbf763a35, v88
	v_add_f32_e32 v84, v86, v84
	v_add_f32_e32 v86, v140, v94
	v_mov_b32_e32 v94, v93
	v_fmac_f32_e32 v94, 0xbe8c1d8e, v85
	v_add_f32_e32 v90, v94, v90
	v_mul_f32_e32 v94, 0xbe8c1d8e, v86
	v_fma_f32 v93, v85, s5, -v93
	v_mov_b32_e32 v139, v94
	v_add_f32_e32 v89, v93, v89
	v_fmac_f32_e32 v94, 0xbf763a35, v87
	v_mul_f32_e32 v93, 0x3f06c442, v88
	v_add_f32_e32 v91, v94, v91
	v_mov_b32_e32 v94, v93
	v_fmac_f32_e32 v94, 0xbf59a7d5, v85
	v_add_f32_e32 v94, v94, v95
	v_mul_f32_e32 v95, 0xbf59a7d5, v86
	v_mov_b32_e32 v140, v95
	v_fma_f32 v93, v85, s14, -v93
	v_fmac_f32_e32 v95, 0x3f06c442, v87
	v_fmac_f32_e32 v139, 0x3f763a35, v87
	v_add_f32_e32 v92, v93, v92
	v_add_f32_e32 v93, v95, v142
	v_mul_f32_e32 v95, 0x3f2c7751, v88
	v_add_f32_e32 v139, v139, v141
	v_mov_b32_e32 v141, v95
	v_fma_f32 v95, v85, s4, -v95
	v_fmac_f32_e32 v140, 0xbf06c442, v87
	v_fmac_f32_e32 v141, 0x3f3d2fb0, v85
	v_mul_f32_e32 v142, 0x3f3d2fb0, v86
	v_add_f32_e32 v95, v95, v143
	v_mul_f32_e32 v143, 0xbf65296c, v88
	v_add_f32_e32 v140, v140, v144
	v_add_f32_e32 v141, v141, v152
	v_mov_b32_e32 v144, v142
	v_fmac_f32_e32 v142, 0x3f2c7751, v87
	v_mov_b32_e32 v152, v143
	v_fma_f32 v143, v85, s3, -v143
	v_fmac_f32_e32 v144, 0xbf2c7751, v87
	v_add_f32_e32 v142, v142, v153
	v_fmac_f32_e32 v152, 0x3ee437d1, v85
	v_mul_f32_e32 v153, 0x3ee437d1, v86
	v_add_f32_e32 v143, v143, v154
	v_mul_f32_e32 v154, 0xbe3c28d5, v88
	v_add_f32_e32 v144, v144, v155
	v_add_f32_e32 v152, v152, v156
	v_mov_b32_e32 v155, v153
	v_fmac_f32_e32 v153, 0xbf65296c, v87
	v_mov_b32_e32 v156, v154
	v_fma_f32 v154, v85, s15, -v154
	v_fmac_f32_e32 v155, 0x3f65296c, v87
	v_add_f32_e32 v153, v153, v157
	;; [unrolled: 12-line block ×3, first 2 shown]
	v_fmac_f32_e32 v160, 0x3dbcf732, v85
	v_mul_f32_e32 v161, 0x3dbcf732, v86
	v_add_f32_e32 v159, v159, v163
	v_mul_f32_e32 v163, 0xbeb8f4ab, v88
	v_add_f32_e32 v158, v158, v162
	v_add_f32_e32 v160, v160, v164
	v_mov_b32_e32 v162, v161
	v_fmac_f32_e32 v161, 0x3f7ee86f, v87
	v_mov_b32_e32 v164, v163
	v_add_f32_e32 v161, v161, v165
	v_fmac_f32_e32 v164, 0x3f6eb680, v85
	v_mul_f32_e32 v165, 0x3f6eb680, v86
	v_fma_f32 v163, v85, s12, -v163
	v_mul_f32_e32 v88, 0xbf4c4adb, v88
	v_mul_f32_e32 v86, 0xbf1a4643, v86
	v_add_f32_e32 v164, v164, v168
	v_add_f32_e32 v163, v163, v167
	v_mov_b32_e32 v167, v88
	v_mov_b32_e32 v168, v86
	v_fmac_f32_e32 v86, 0xbf4c4adb, v87
	v_fmac_f32_e32 v167, 0xbf1a4643, v85
	v_fma_f32 v85, v85, s13, -v88
	v_add_f32_e32 v84, v86, v84
	v_add_f32_e32 v86, v79, v73
	v_sub_f32_e32 v73, v73, v79
	v_fmac_f32_e32 v162, 0xbf7ee86f, v87
	v_add_f32_e32 v83, v85, v83
	v_add_f32_e32 v85, v78, v72
	v_sub_f32_e32 v72, v72, v78
	v_mul_f32_e32 v78, 0xbf4c4adb, v73
	v_add_f32_e32 v162, v162, v166
	v_mov_b32_e32 v166, v165
	v_mov_b32_e32 v79, v78
	v_fma_f32 v78, v85, s13, -v78
	v_fmac_f32_e32 v166, 0x3eb8f4ab, v87
	v_fmac_f32_e32 v165, 0xbeb8f4ab, v87
	;; [unrolled: 1-line block ×4, first 2 shown]
	v_mul_f32_e32 v87, 0xbf1a4643, v86
	v_add_f32_e32 v78, v78, v89
	v_mul_f32_e32 v89, 0x3f763a35, v73
	v_add_f32_e32 v79, v79, v90
	v_mov_b32_e32 v88, v87
	v_fmac_f32_e32 v87, 0xbf4c4adb, v72
	v_mov_b32_e32 v90, v89
	v_add_f32_e32 v87, v87, v91
	v_fmac_f32_e32 v90, 0xbe8c1d8e, v85
	v_mul_f32_e32 v91, 0xbe8c1d8e, v86
	v_fmac_f32_e32 v88, 0x3f4c4adb, v72
	v_add_f32_e32 v90, v90, v94
	v_mov_b32_e32 v94, v91
	v_fma_f32 v89, v85, s5, -v89
	v_add_f32_e32 v88, v88, v139
	v_fmac_f32_e32 v94, 0xbf763a35, v72
	v_add_f32_e32 v89, v89, v92
	v_fmac_f32_e32 v91, 0x3f763a35, v72
	v_mul_f32_e32 v92, 0xbeb8f4ab, v73
	v_mul_f32_e32 v139, 0x3f6eb680, v86
	v_add_f32_e32 v94, v94, v140
	v_add_f32_e32 v91, v91, v93
	v_mov_b32_e32 v93, v92
	v_mov_b32_e32 v140, v139
	v_fma_f32 v92, v85, s12, -v92
	v_fmac_f32_e32 v139, 0xbeb8f4ab, v72
	v_fmac_f32_e32 v93, 0x3f6eb680, v85
	v_add_f32_e32 v92, v92, v95
	v_add_f32_e32 v95, v139, v142
	v_mul_f32_e32 v139, 0xbf06c442, v73
	v_add_f32_e32 v93, v93, v141
	v_mov_b32_e32 v141, v139
	v_fma_f32 v139, v85, s14, -v139
	v_fmac_f32_e32 v140, 0x3eb8f4ab, v72
	v_fmac_f32_e32 v141, 0xbf59a7d5, v85
	v_mul_f32_e32 v142, 0xbf59a7d5, v86
	v_add_f32_e32 v139, v139, v143
	v_mul_f32_e32 v143, 0x3f7ee86f, v73
	v_add_f32_e32 v140, v140, v144
	v_add_f32_e32 v141, v141, v152
	v_mov_b32_e32 v144, v142
	v_fmac_f32_e32 v142, 0xbf06c442, v72
	v_mov_b32_e32 v152, v143
	v_fma_f32 v143, v85, s2, -v143
	v_fmac_f32_e32 v144, 0x3f06c442, v72
	v_add_f32_e32 v142, v142, v153
	v_fmac_f32_e32 v152, 0x3dbcf732, v85
	v_mul_f32_e32 v153, 0x3dbcf732, v86
	v_add_f32_e32 v143, v143, v154
	v_mul_f32_e32 v154, 0xbf2c7751, v73
	v_add_f32_e32 v144, v144, v155
	v_add_f32_e32 v152, v152, v156
	v_mov_b32_e32 v155, v153
	v_fmac_f32_e32 v153, 0x3f7ee86f, v72
	v_mov_b32_e32 v156, v154
	v_fma_f32 v154, v85, s4, -v154
	v_fmac_f32_e32 v155, 0xbf7ee86f, v72
	v_add_f32_e32 v153, v153, v157
	v_fmac_f32_e32 v156, 0x3f3d2fb0, v85
	v_mul_f32_e32 v157, 0x3f3d2fb0, v86
	v_add_f32_e32 v154, v154, v159
	v_mul_f32_e32 v159, 0xbe3c28d5, v73
	v_add_f32_e32 v155, v155, v158
	v_add_f32_e32 v156, v156, v160
	v_mov_b32_e32 v158, v157
	v_fmac_f32_e32 v157, 0xbf2c7751, v72
	v_mov_b32_e32 v160, v159
	v_fmac_f32_e32 v158, 0x3f2c7751, v72
	v_add_f32_e32 v157, v157, v161
	v_fmac_f32_e32 v160, 0xbf7ba420, v85
	v_mul_f32_e32 v161, 0xbf7ba420, v86
	v_mul_f32_e32 v86, 0x3ee437d1, v86
	v_add_f32_e32 v158, v158, v162
	v_add_f32_e32 v160, v160, v164
	v_mov_b32_e32 v162, v161
	v_fma_f32 v159, v85, s15, -v159
	v_mul_f32_e32 v73, 0x3f65296c, v73
	v_mov_b32_e32 v164, v86
	v_fmac_f32_e32 v86, 0x3f65296c, v72
	v_fmac_f32_e32 v162, 0x3e3c28d5, v72
	v_add_f32_e32 v159, v159, v163
	v_fmac_f32_e32 v161, 0xbe3c28d5, v72
	v_mov_b32_e32 v163, v73
	v_fmac_f32_e32 v164, 0xbf65296c, v72
	v_fma_f32 v73, v85, s3, -v73
	v_add_f32_e32 v72, v86, v84
	v_add_f32_e32 v84, v77, v75
	v_sub_f32_e32 v75, v75, v77
	v_add_f32_e32 v73, v73, v83
	v_add_f32_e32 v83, v76, v74
	v_sub_f32_e32 v74, v74, v76
	v_mul_f32_e32 v76, 0xbf06c442, v75
	v_mov_b32_e32 v77, v76
	v_fmac_f32_e32 v77, 0xbf59a7d5, v83
	v_add_f32_e32 v77, v77, v79
	v_mul_f32_e32 v79, 0xbf59a7d5, v84
	v_fmac_f32_e32 v163, 0x3ee437d1, v85
	v_mov_b32_e32 v85, v79
	v_fma_f32 v76, v83, s14, -v76
	v_fmac_f32_e32 v79, 0xbf06c442, v74
	v_add_f32_e32 v76, v76, v78
	v_add_f32_e32 v78, v79, v87
	v_mul_f32_e32 v79, 0x3f65296c, v75
	v_mov_b32_e32 v86, v79
	v_fma_f32 v79, v83, s3, -v79
	v_fmac_f32_e32 v85, 0x3f06c442, v74
	v_fmac_f32_e32 v86, 0x3ee437d1, v83
	v_mul_f32_e32 v87, 0x3ee437d1, v84
	v_add_f32_e32 v79, v79, v89
	v_mul_f32_e32 v89, 0xbf7ee86f, v75
	v_add_f32_e32 v85, v85, v88
	v_add_f32_e32 v86, v86, v90
	v_mov_b32_e32 v88, v87
	v_fmac_f32_e32 v87, 0x3f65296c, v74
	v_mov_b32_e32 v90, v89
	v_add_f32_e32 v87, v87, v91
	v_fmac_f32_e32 v90, 0x3dbcf732, v83
	v_mul_f32_e32 v91, 0x3dbcf732, v84
	v_add_f32_e32 v177, v177, v181
	v_add_f32_e32 v90, v90, v93
	v_mov_b32_e32 v93, v91
	v_fma_f32 v89, v83, s2, -v89
	v_fmac_f32_e32 v91, 0xbf7ee86f, v74
	v_add_f32_e32 v173, v173, v177
	v_fmac_f32_e32 v88, 0xbf65296c, v74
	v_fmac_f32_e32 v93, 0x3f7ee86f, v74
	v_add_f32_e32 v89, v89, v92
	v_add_f32_e32 v91, v91, v95
	v_mul_f32_e32 v92, 0x3f4c4adb, v75
	v_mul_f32_e32 v95, 0xbf1a4643, v84
	v_add_f32_e32 v169, v169, v173
	v_add_f32_e32 v88, v88, v94
	;; [unrolled: 1-line block ×3, first 2 shown]
	v_mov_b32_e32 v94, v92
	v_mov_b32_e32 v140, v95
	v_fma_f32 v92, v83, s13, -v92
	v_add_f32_e32 v178, v178, v182
	v_add_f32_e32 v165, v165, v169
	v_fmac_f32_e32 v140, 0xbf4c4adb, v74
	v_add_f32_e32 v92, v92, v139
	v_mul_f32_e32 v139, 0xbeb8f4ab, v75
	v_add_f32_e32 v174, v174, v178
	v_add_f32_e32 v161, v161, v165
	;; [unrolled: 1-line block ×3, first 2 shown]
	v_mov_b32_e32 v140, v139
	v_add_f32_e32 v170, v170, v174
	v_fmac_f32_e32 v140, 0x3f6eb680, v83
	v_add_f32_e32 v166, v166, v170
	v_fmac_f32_e32 v94, 0xbf1a4643, v83
	v_add_f32_e32 v152, v140, v152
	v_mul_f32_e32 v140, 0x3f6eb680, v84
	v_fma_f32 v139, v83, s12, -v139
	v_add_f32_e32 v162, v162, v166
	v_add_f32_e32 v94, v94, v141
	v_mov_b32_e32 v141, v140
	v_add_f32_e32 v166, v139, v143
	v_fmac_f32_e32 v140, 0xbeb8f4ab, v74
	v_mul_f32_e32 v139, 0xbe3c28d5, v75
	v_add_f32_e32 v153, v140, v153
	v_mov_b32_e32 v140, v139
	v_fmac_f32_e32 v140, 0xbf7ba420, v83
	v_add_f32_e32 v179, v179, v183
	v_fmac_f32_e32 v141, 0x3eb8f4ab, v74
	v_add_f32_e32 v156, v140, v156
	v_mul_f32_e32 v140, 0xbf7ba420, v84
	v_fma_f32 v139, v83, s15, -v139
	v_add_f32_e32 v180, v180, v184
	v_add_f32_e32 v175, v175, v179
	;; [unrolled: 1-line block ×3, first 2 shown]
	v_mov_b32_e32 v141, v140
	v_add_f32_e32 v154, v139, v154
	v_fmac_f32_e32 v140, 0xbe3c28d5, v74
	v_mul_f32_e32 v139, 0x3f2c7751, v75
	v_add_f32_e32 v176, v176, v180
	v_add_f32_e32 v171, v171, v175
	;; [unrolled: 1-line block ×3, first 2 shown]
	v_mov_b32_e32 v140, v139
	v_fma_f32 v139, v83, s4, -v139
	v_mul_f32_e32 v75, 0xbf763a35, v75
	v_add_f32_e32 v172, v172, v176
	v_add_f32_e32 v167, v167, v171
	v_fmac_f32_e32 v140, 0x3f3d2fb0, v83
	v_add_f32_e32 v159, v139, v159
	v_mov_b32_e32 v139, v75
	v_add_f32_e32 v168, v168, v172
	v_add_f32_e32 v163, v163, v167
	v_fmac_f32_e32 v141, 0x3e3c28d5, v74
	v_add_f32_e32 v160, v140, v160
	v_mul_f32_e32 v140, 0x3f3d2fb0, v84
	v_fmac_f32_e32 v139, 0xbe8c1d8e, v83
	v_mul_f32_e32 v84, 0xbe8c1d8e, v84
	v_add_f32_e32 v170, v71, v69
	v_sub_f32_e32 v172, v69, v71
	v_add_f32_e32 v158, v141, v158
	v_mov_b32_e32 v141, v140
	v_add_f32_e32 v163, v139, v163
	v_mov_b32_e32 v139, v84
	v_fma_f32 v75, v83, s5, -v75
	v_fmac_f32_e32 v84, 0xbf763a35, v74
	v_add_f32_e32 v169, v70, v68
	v_sub_f32_e32 v171, v68, v70
	v_mul_f32_e32 v70, 0xbe3c28d5, v172
	v_mul_f32_e32 v71, 0xbf7ba420, v170
	v_add_f32_e32 v164, v164, v168
	v_fmac_f32_e32 v95, 0x3f4c4adb, v74
	v_fmac_f32_e32 v141, 0xbf2c7751, v74
	v_add_f32_e32 v167, v75, v73
	v_add_f32_e32 v168, v84, v72
	v_mov_b32_e32 v68, v70
	v_mov_b32_e32 v69, v71
	v_fma_f32 v70, v169, s15, -v70
	v_fmac_f32_e32 v71, 0xbe3c28d5, v171
	v_mul_f32_e32 v72, 0x3eb8f4ab, v172
	v_mul_f32_e32 v73, 0x3f6eb680, v170
	v_add_f32_e32 v95, v95, v142
	v_add_f32_e32 v162, v141, v162
	v_fmac_f32_e32 v140, 0x3f2c7751, v74
	v_fmac_f32_e32 v139, 0x3f763a35, v74
	v_fmac_f32_e32 v68, 0xbf7ba420, v169
	v_add_f32_e32 v141, v70, v76
	v_add_f32_e32 v142, v71, v78
	v_mov_b32_e32 v70, v72
	v_mov_b32_e32 v71, v73
	v_fma_f32 v72, v169, s12, -v72
	v_fmac_f32_e32 v73, 0x3eb8f4ab, v171
	v_mul_f32_e32 v74, 0xbf06c442, v172
	v_mul_f32_e32 v75, 0xbf59a7d5, v170
	v_add_f32_e32 v68, v68, v77
	v_add_f32_e32 v143, v72, v79
	;; [unrolled: 1-line block ×3, first 2 shown]
	v_mov_b32_e32 v72, v74
	v_mov_b32_e32 v73, v75
	v_fma_f32 v74, v169, s14, -v74
	v_fmac_f32_e32 v75, 0xbf06c442, v171
	v_mul_f32_e32 v76, 0x3f2c7751, v172
	v_mul_f32_e32 v77, 0x3f3d2fb0, v170
	;; [unrolled: 1-line block ×3, first 2 shown]
	v_add_f32_e32 v161, v140, v161
	v_add_f32_e32 v164, v139, v164
	v_fmac_f32_e32 v71, 0xbeb8f4ab, v171
	v_add_f32_e32 v139, v74, v89
	v_add_f32_e32 v140, v75, v91
	v_mov_b32_e32 v74, v76
	v_mov_b32_e32 v75, v77
	v_fma_f32 v76, v169, s4, -v76
	v_fmac_f32_e32 v77, 0x3f2c7751, v171
	v_mov_b32_e32 v79, v84
	v_fmac_f32_e32 v84, 0xbf4c4adb, v171
	v_fmac_f32_e32 v69, 0x3e3c28d5, v171
	;; [unrolled: 1-line block ×3, first 2 shown]
	v_add_f32_e32 v71, v71, v88
	v_fmac_f32_e32 v72, 0xbf59a7d5, v169
	v_fmac_f32_e32 v73, 0x3f06c442, v171
	;; [unrolled: 1-line block ×3, first 2 shown]
	v_add_f32_e32 v76, v76, v92
	v_add_f32_e32 v77, v77, v95
	v_mul_f32_e32 v83, 0xbf4c4adb, v172
	v_add_f32_e32 v84, v84, v153
	v_mul_f32_e32 v87, 0x3f65296c, v172
	v_mul_f32_e32 v88, 0x3ee437d1, v170
	;; [unrolled: 1-line block ×6, first 2 shown]
	v_add_f32_e32 v69, v69, v85
	v_add_f32_e32 v70, v70, v86
	v_add_f32_e32 v72, v72, v90
	v_add_f32_e32 v73, v73, v93
	v_add_f32_e32 v74, v74, v94
	v_mov_b32_e32 v78, v83
	v_mov_b32_e32 v85, v87
	;; [unrolled: 1-line block ×7, first 2 shown]
	v_fmac_f32_e32 v75, 0xbf2c7751, v171
	v_fmac_f32_e32 v78, 0xbf1a4643, v169
	;; [unrolled: 1-line block ×3, first 2 shown]
	v_fma_f32 v83, v169, s13, -v83
	v_fmac_f32_e32 v85, 0x3ee437d1, v169
	v_fmac_f32_e32 v86, 0xbf65296c, v171
	v_fma_f32 v87, v169, s3, -v87
	v_fmac_f32_e32 v88, 0x3f65296c, v171
	v_fmac_f32_e32 v89, 0xbe8c1d8e, v169
	v_fmac_f32_e32 v90, 0x3f763a35, v171
	v_fma_f32 v91, v169, s5, -v91
	v_fmac_f32_e32 v92, 0xbf763a35, v171
	;; [unrolled: 4-line block ×3, first 2 shown]
	v_add_f32_e32 v75, v75, v165
	v_add_f32_e32 v78, v78, v152
	;; [unrolled: 1-line block ×16, first 2 shown]
	s_barrier
	ds_write2_b64 v82, v[80:81], v[68:69] offset1:1
	ds_write2_b64 v82, v[70:71], v[72:73] offset0:2 offset1:3
	ds_write2_b64 v82, v[74:75], v[78:79] offset0:4 offset1:5
	;; [unrolled: 1-line block ×7, first 2 shown]
	ds_write_b64 v82, v[141:142] offset:128
	v_add_u32_e32 v72, 0x800, v145
	s_waitcnt lgkmcnt(0)
	s_barrier
	ds_read2_b64 v[92:95], v72 offset0:33 offset1:152
	v_add_u32_e32 v72, 0x1000, v145
	ds_read2_b64 v[88:91], v72 offset0:66 offset1:185
	v_add_u32_e32 v72, 0x1800, v145
	;; [unrolled: 2-line block ×3, first 2 shown]
	ds_read2_b64 v[68:71], v145 offset1:119
	ds_read2_b64 v[80:83], v72 offset0:132 offset1:251
	ds_read2_b64 v[76:79], v151 offset0:37 offset1:156
	v_add_u32_e32 v72, 0x3400, v145
	ds_read2_b64 v[72:75], v72 offset0:70 offset1:189
	s_and_saveexec_b64 s[0:1], vcc
	s_cbranch_execz .LBB0_7
; %bb.6:
	ds_read_b64 v[139:140], v145 offset:1904
	ds_read_b64 v[143:144], v145 offset:4216
	;; [unrolled: 1-line block ×7, first 2 shown]
.LBB0_7:
	s_or_b64 exec, exec, s[0:1]
	s_waitcnt lgkmcnt(6)
	v_mul_f32_e32 v151, v45, v93
	v_mul_f32_e32 v45, v45, v92
	v_fmac_f32_e32 v151, v44, v92
	v_fma_f32 v44, v44, v93, -v45
	s_waitcnt lgkmcnt(5)
	v_mul_f32_e32 v45, v47, v89
	v_mul_f32_e32 v47, v47, v88
	v_fmac_f32_e32 v45, v46, v88
	v_fma_f32 v46, v46, v89, -v47
	;; [unrolled: 5-line block ×5, first 2 shown]
	v_mul_f32_e32 v77, v17, v87
	v_mul_f32_e32 v17, v17, v86
	v_fmac_f32_e32 v77, v16, v86
	v_fma_f32 v80, v16, v87, -v17
	v_mul_f32_e32 v81, v19, v83
	v_mul_f32_e32 v16, v19, v82
	s_waitcnt lgkmcnt(0)
	v_mul_f32_e32 v29, v31, v73
	v_mul_f32_e32 v31, v31, v72
	v_fmac_f32_e32 v81, v18, v82
	v_fma_f32 v82, v18, v83, -v16
	v_mul_f32_e32 v83, v13, v79
	v_mul_f32_e32 v13, v13, v78
	v_fmac_f32_e32 v29, v30, v72
	v_fma_f32 v30, v30, v73, -v31
	;; [unrolled: 4-line block ×5, first 2 shown]
	v_add_f32_e32 v12, v151, v29
	v_add_f32_e32 v16, v45, v35
	v_fmac_f32_e32 v73, v22, v90
	v_fma_f32 v76, v22, v91, -v20
	v_add_f32_e32 v13, v44, v30
	v_add_f32_e32 v17, v46, v28
	v_sub_f32_e32 v18, v45, v35
	v_sub_f32_e32 v19, v46, v28
	v_add_f32_e32 v20, v47, v33
	v_sub_f32_e32 v22, v33, v47
	v_add_f32_e32 v28, v16, v12
	v_sub_f32_e32 v14, v151, v29
	v_sub_f32_e32 v15, v44, v30
	v_add_f32_e32 v21, v32, v34
	v_sub_f32_e32 v23, v34, v32
	v_add_f32_e32 v29, v17, v13
	v_sub_f32_e32 v30, v16, v12
	v_sub_f32_e32 v33, v12, v20
	;; [unrolled: 1-line block ×3, first 2 shown]
	v_add_f32_e32 v12, v22, v18
	v_add_f32_e32 v20, v20, v28
	v_sub_f32_e32 v32, v17, v13
	v_sub_f32_e32 v34, v13, v21
	;; [unrolled: 1-line block ×3, first 2 shown]
	v_add_f32_e32 v13, v23, v19
	v_sub_f32_e32 v35, v22, v18
	v_sub_f32_e32 v22, v14, v22
	;; [unrolled: 1-line block ×3, first 2 shown]
	v_add_f32_e32 v21, v21, v29
	v_add_f32_e32 v14, v12, v14
	v_add_f32_e32 v12, v68, v20
	v_sub_f32_e32 v44, v23, v19
	v_sub_f32_e32 v23, v15, v23
	;; [unrolled: 1-line block ×3, first 2 shown]
	v_add_f32_e32 v15, v13, v15
	v_add_f32_e32 v13, v69, v21
	v_mov_b32_e32 v47, v12
	v_mul_f32_e32 v28, 0x3f4a47b2, v33
	v_mul_f32_e32 v29, 0x3f4a47b2, v34
	;; [unrolled: 1-line block ×6, first 2 shown]
	s_mov_b32 s2, 0xbf5ff5aa
	v_mul_f32_e32 v45, 0xbf5ff5aa, v18
	v_mul_f32_e32 v46, 0xbf5ff5aa, v19
	v_fmac_f32_e32 v47, 0xbf955555, v20
	v_mov_b32_e32 v20, v13
	s_mov_b32 s3, 0x3f3bfb3b
	s_mov_b32 s4, 0xbf3bfb3b
	;; [unrolled: 1-line block ×3, first 2 shown]
	v_fmac_f32_e32 v20, 0xbf955555, v21
	v_fma_f32 v21, v30, s3, -v33
	v_fma_f32 v33, v32, s3, -v34
	;; [unrolled: 1-line block ×3, first 2 shown]
	v_fmac_f32_e32 v28, 0x3d64c772, v16
	v_fma_f32 v16, v32, s4, -v29
	v_fma_f32 v32, v18, s2, -v35
	v_fmac_f32_e32 v35, 0xbeae86e6, v22
	v_fma_f32 v34, v19, s2, -v44
	v_fma_f32 v45, v22, s5, -v45
	;; [unrolled: 1-line block ×3, first 2 shown]
	v_fmac_f32_e32 v29, 0x3d64c772, v17
	v_fmac_f32_e32 v44, 0xbeae86e6, v23
	v_add_f32_e32 v21, v21, v47
	v_add_f32_e32 v30, v30, v47
	v_fmac_f32_e32 v34, 0xbee1c552, v15
	v_fmac_f32_e32 v22, 0xbee1c552, v15
	v_add_f32_e32 v28, v28, v47
	v_add_f32_e32 v29, v29, v20
	;; [unrolled: 1-line block ×4, first 2 shown]
	v_fmac_f32_e32 v35, 0xbee1c552, v14
	v_fmac_f32_e32 v44, 0xbee1c552, v15
	;; [unrolled: 1-line block ×4, first 2 shown]
	v_add_f32_e32 v16, v22, v30
	v_sub_f32_e32 v18, v21, v34
	v_add_f32_e32 v20, v34, v21
	v_sub_f32_e32 v22, v30, v22
	v_add_f32_e32 v30, v31, v79
	v_add_f32_e32 v34, v73, v83
	;; [unrolled: 1-line block ×3, first 2 shown]
	v_sub_f32_e32 v15, v29, v35
	v_sub_f32_e32 v17, v33, v45
	v_add_f32_e32 v19, v32, v23
	v_sub_f32_e32 v21, v23, v32
	v_add_f32_e32 v23, v45, v33
	;; [unrolled: 2-line block ×3, first 2 shown]
	v_add_f32_e32 v32, v72, v74
	v_sub_f32_e32 v33, v72, v74
	v_add_f32_e32 v35, v76, v78
	v_sub_f32_e32 v44, v73, v83
	;; [unrolled: 2-line block ×4, first 2 shown]
	v_sub_f32_e32 v45, v76, v78
	v_add_f32_e32 v47, v80, v82
	v_add_f32_e32 v73, v35, v32
	v_sub_f32_e32 v74, v34, v30
	v_sub_f32_e32 v76, v30, v46
	;; [unrolled: 1-line block ×3, first 2 shown]
	v_add_f32_e32 v30, v68, v44
	v_add_f32_e32 v46, v46, v72
	v_sub_f32_e32 v69, v82, v80
	v_sub_f32_e32 v75, v35, v32
	;; [unrolled: 1-line block ×4, first 2 shown]
	v_add_f32_e32 v47, v47, v73
	v_add_f32_e32 v72, v30, v31
	;; [unrolled: 1-line block ×4, first 2 shown]
	v_sub_f32_e32 v78, v68, v44
	v_sub_f32_e32 v79, v69, v45
	;; [unrolled: 1-line block ×5, first 2 shown]
	v_add_f32_e32 v31, v71, v47
	v_mov_b32_e32 v80, v30
	v_sub_f32_e32 v69, v33, v69
	v_add_f32_e32 v33, v77, v33
	v_mul_f32_e32 v70, 0x3f4a47b2, v76
	v_mul_f32_e32 v32, 0x3f4a47b2, v32
	;; [unrolled: 1-line block ×8, first 2 shown]
	v_fmac_f32_e32 v80, 0xbf955555, v46
	v_mov_b32_e32 v46, v31
	v_fmac_f32_e32 v46, 0xbf955555, v47
	v_fma_f32 v47, v74, s3, -v71
	v_fma_f32 v71, v75, s3, -v73
	;; [unrolled: 1-line block ×3, first 2 shown]
	v_fmac_f32_e32 v70, 0x3d64c772, v34
	v_fma_f32 v34, v75, s4, -v32
	v_fmac_f32_e32 v32, 0x3d64c772, v35
	v_fma_f32 v74, v44, s2, -v76
	;; [unrolled: 2-line block ×4, first 2 shown]
	v_fma_f32 v68, v69, s5, -v79
	v_add_f32_e32 v70, v70, v80
	v_add_f32_e32 v79, v32, v46
	;; [unrolled: 1-line block ×6, first 2 shown]
	v_fmac_f32_e32 v76, 0xbee1c552, v72
	v_fmac_f32_e32 v77, 0xbee1c552, v33
	v_fmac_f32_e32 v74, 0xbee1c552, v72
	v_fmac_f32_e32 v75, 0xbee1c552, v33
	v_fmac_f32_e32 v78, 0xbee1c552, v72
	v_fmac_f32_e32 v68, 0xbee1c552, v33
	v_add_f32_e32 v32, v77, v70
	v_sub_f32_e32 v33, v79, v76
	v_add_f32_e32 v34, v68, v71
	v_sub_f32_e32 v35, v73, v78
	v_sub_f32_e32 v44, v47, v75
	v_add_f32_e32 v45, v74, v69
	v_add_f32_e32 v46, v75, v47
	v_sub_f32_e32 v47, v69, v74
	v_sub_f32_e32 v68, v71, v68
	v_add_f32_e32 v69, v78, v73
	v_sub_f32_e32 v70, v70, v77
	v_add_f32_e32 v71, v76, v79
	s_barrier
	ds_write2_b64 v149, v[12:13], v[14:15] offset1:17
	ds_write2_b64 v149, v[16:17], v[18:19] offset0:34 offset1:51
	ds_write2_b64 v149, v[20:21], v[22:23] offset0:68 offset1:85
	ds_write_b64 v149, v[28:29] offset:816
	ds_write2_b64 v150, v[30:31], v[32:33] offset1:17
	ds_write2_b64 v150, v[34:35], v[44:45] offset0:34 offset1:51
	ds_write2_b64 v150, v[46:47], v[68:69] offset0:68 offset1:85
	ds_write_b64 v150, v[70:71] offset:816
	s_and_saveexec_b64 s[0:1], vcc
	s_cbranch_execz .LBB0_9
; %bb.8:
	v_mul_f32_e32 v12, v1, v144
	v_mul_f32_e32 v13, v11, v138
	;; [unrolled: 1-line block ×4, first 2 shown]
	v_fmac_f32_e32 v12, v0, v143
	v_fmac_f32_e32 v13, v10, v137
	v_mul_f32_e32 v16, v5, v132
	v_fma_f32 v10, v10, v138, -v11
	v_fma_f32 v11, v0, v144, -v1
	v_mul_f32_e32 v0, v5, v131
	v_fmac_f32_e32 v16, v4, v131
	v_fma_f32 v4, v4, v132, -v0
	v_mul_f32_e32 v0, v7, v135
	v_fma_f32 v5, v6, v136, -v0
	v_add_f32_e32 v28, v10, v11
	v_add_f32_e32 v0, v4, v5
	v_mul_f32_e32 v15, v7, v136
	v_sub_f32_e32 v1, v28, v0
	v_fmac_f32_e32 v15, v6, v135
	v_mul_f32_e32 v6, 0x3f4a47b2, v1
	v_mul_f32_e32 v1, v9, v133
	;; [unrolled: 1-line block ×3, first 2 shown]
	v_fma_f32 v7, v8, v134, -v1
	v_mul_f32_e32 v1, v3, v141
	v_fmac_f32_e32 v19, v2, v141
	v_mul_f32_e32 v20, v9, v134
	v_fma_f32 v2, v2, v142, -v1
	v_fmac_f32_e32 v20, v8, v133
	v_add_f32_e32 v8, v7, v2
	v_sub_f32_e32 v1, v0, v8
	v_mov_b32_e32 v3, v6
	v_mul_f32_e32 v9, 0x3d64c772, v1
	v_fmac_f32_e32 v3, 0x3d64c772, v1
	v_add_f32_e32 v1, v8, v28
	v_add_f32_e32 v0, v0, v1
	;; [unrolled: 1-line block ×3, first 2 shown]
	v_mov_b32_e32 v29, v1
	v_sub_f32_e32 v14, v12, v13
	v_fmac_f32_e32 v29, 0xbf955555, v0
	v_add_f32_e32 v12, v13, v12
	v_add_f32_e32 v0, v16, v15
	v_sub_f32_e32 v13, v12, v0
	v_sub_f32_e32 v17, v15, v16
	v_mul_f32_e32 v13, 0x3f4a47b2, v13
	v_add_f32_e32 v15, v20, v19
	v_sub_f32_e32 v21, v19, v20
	v_sub_f32_e32 v16, v0, v15
	v_mov_b32_e32 v20, v13
	v_mul_f32_e32 v19, 0x3d64c772, v16
	v_fmac_f32_e32 v20, 0x3d64c772, v16
	v_add_f32_e32 v16, v15, v12
	v_add_f32_e32 v16, v0, v16
	;; [unrolled: 1-line block ×3, first 2 shown]
	v_sub_f32_e32 v18, v14, v17
	v_sub_f32_e32 v22, v17, v21
	v_add_f32_e32 v17, v17, v21
	v_mov_b32_e32 v31, v0
	v_sub_f32_e32 v4, v5, v4
	v_sub_f32_e32 v7, v2, v7
	v_mul_f32_e32 v22, 0x3f08b237, v22
	v_add_f32_e32 v17, v17, v14
	v_fmac_f32_e32 v31, 0xbf955555, v16
	v_sub_f32_e32 v10, v11, v10
	v_sub_f32_e32 v2, v4, v7
	;; [unrolled: 1-line block ×3, first 2 shown]
	v_mov_b32_e32 v23, v22
	v_add_f32_e32 v16, v20, v31
	v_sub_f32_e32 v11, v10, v4
	v_mul_f32_e32 v20, 0x3f08b237, v2
	v_add_f32_e32 v2, v4, v7
	v_mul_f32_e32 v4, 0xbf5ff5aa, v14
	v_sub_f32_e32 v8, v8, v28
	v_fmac_f32_e32 v23, 0xbeae86e6, v18
	v_fma_f32 v18, v18, s5, -v4
	v_fma_f32 v4, v8, s4, -v6
	v_sub_f32_e32 v6, v15, v12
	v_add_f32_e32 v33, v2, v10
	v_add_f32_e32 v21, v4, v29
	v_fma_f32 v4, v6, s4, -v13
	v_sub_f32_e32 v10, v7, v10
	v_mov_b32_e32 v32, v20
	v_add_f32_e32 v12, v4, v31
	v_mul_f32_e32 v4, 0xbf5ff5aa, v10
	v_fmac_f32_e32 v32, 0xbeae86e6, v11
	v_fma_f32 v13, v11, s5, -v4
	v_fma_f32 v7, v8, s3, -v9
	;; [unrolled: 1-line block ×5, first 2 shown]
	s_movk_i32 s2, 0x77
	v_fmac_f32_e32 v23, 0xbee1c552, v17
	v_add_f32_e32 v30, v3, v29
	v_fmac_f32_e32 v32, 0xbee1c552, v33
	v_fmac_f32_e32 v13, 0xbee1c552, v33
	v_add_f32_e32 v8, v7, v29
	v_fmac_f32_e32 v9, 0xbee1c552, v17
	v_fmac_f32_e32 v10, 0xbee1c552, v33
	v_add_f32_e32 v11, v6, v31
	v_mad_legacy_u16 v14, v147, s2, v148
	v_fmac_f32_e32 v18, 0xbee1c552, v17
	v_sub_f32_e32 v4, v12, v13
	v_sub_f32_e32 v7, v8, v9
	v_add_f32_e32 v6, v10, v11
	v_add_f32_e32 v9, v9, v8
	v_sub_f32_e32 v8, v11, v10
	v_add_f32_e32 v10, v13, v12
	v_sub_f32_e32 v13, v30, v23
	v_add_f32_e32 v12, v32, v16
	v_lshlrev_b32_e32 v14, 3, v14
	v_add_f32_e32 v3, v23, v30
	v_sub_f32_e32 v2, v16, v32
	v_add_f32_e32 v5, v18, v21
	v_sub_f32_e32 v11, v21, v18
	ds_write2_b64 v14, v[0:1], v[12:13] offset1:17
	ds_write2_b64 v14, v[10:11], v[8:9] offset0:34 offset1:51
	ds_write2_b64 v14, v[6:7], v[4:5] offset0:68 offset1:85
	ds_write_b64 v14, v[2:3] offset:816
.LBB0_9:
	s_or_b64 exec, exec, s[0:1]
	s_waitcnt lgkmcnt(0)
	s_barrier
	ds_read2_b64 v[29:32], v145 offset1:119
	v_add_u32_e32 v10, 0x400, v145
	ds_read2_b64 v[11:14], v10 offset0:110 offset1:229
	v_add_u32_e32 v9, 0xc00, v145
	ds_read2_b64 v[15:18], v9 offset0:92 offset1:211
	v_add_u32_e32 v8, 0x1400, v145
	s_waitcnt lgkmcnt(2)
	v_mul_f32_e32 v33, v61, v32
	v_mul_f32_e32 v19, v61, v31
	ds_read2_b64 v[44:47], v8 offset0:74 offset1:193
	v_fmac_f32_e32 v33, v60, v31
	v_fma_f32 v31, v60, v32, -v19
	s_waitcnt lgkmcnt(2)
	v_mul_f32_e32 v32, v63, v12
	v_add_u32_e32 v7, 0x1c00, v145
	v_add_u32_e32 v6, 0x2400, v145
	;; [unrolled: 1-line block ×4, first 2 shown]
	v_fmac_f32_e32 v32, v62, v11
	v_mul_f32_e32 v11, v63, v11
	ds_read2_b64 v[68:71], v7 offset0:56 offset1:175
	ds_read2_b64 v[72:75], v6 offset0:38 offset1:157
	;; [unrolled: 1-line block ×4, first 2 shown]
	ds_read_b64 v[2:3], v145 offset:15232
	v_fma_f32 v34, v62, v12, -v11
	v_mul_f32_e32 v35, v53, v14
	v_mul_f32_e32 v11, v53, v13
	v_fmac_f32_e32 v35, v52, v13
	v_fma_f32 v52, v52, v14, -v11
	s_waitcnt lgkmcnt(6)
	v_mul_f32_e32 v53, v55, v16
	v_mul_f32_e32 v11, v55, v15
	v_fmac_f32_e32 v53, v54, v15
	v_fma_f32 v54, v54, v16, -v11
	v_mul_f32_e32 v11, v41, v17
	v_fma_f32 v28, v40, v18, -v11
	s_waitcnt lgkmcnt(5)
	v_mul_f32_e32 v19, v43, v45
	v_mul_f32_e32 v11, v43, v44
	v_fmac_f32_e32 v19, v42, v44
	v_fma_f32 v20, v42, v45, -v11
	s_waitcnt lgkmcnt(1)
	v_mul_f32_e32 v42, v37, v83
	v_mul_f32_e32 v37, v37, v82
	v_fmac_f32_e32 v42, v36, v82
	v_fma_f32 v36, v36, v83, -v37
	s_waitcnt lgkmcnt(0)
	v_mul_f32_e32 v37, v39, v3
	v_fmac_f32_e32 v37, v38, v2
	v_mul_f32_e32 v2, v39, v2
	v_fma_f32 v38, v38, v3, -v2
	v_add_f32_e32 v2, v29, v33
	v_add_f32_e32 v2, v2, v32
	v_mul_f32_e32 v23, v41, v18
	v_add_f32_e32 v3, v30, v31
	v_add_f32_e32 v2, v2, v35
	v_fmac_f32_e32 v23, v40, v17
	v_add_f32_e32 v3, v3, v34
	v_add_f32_e32 v2, v2, v53
	v_mul_f32_e32 v15, v25, v47
	v_mul_f32_e32 v11, v25, v46
	v_add_f32_e32 v3, v3, v52
	v_add_f32_e32 v2, v2, v23
	v_fmac_f32_e32 v15, v24, v46
	v_fma_f32 v16, v24, v47, -v11
	v_mul_f32_e32 v11, v27, v69
	v_add_f32_e32 v3, v3, v54
	v_add_f32_e32 v2, v2, v19
	v_fmac_f32_e32 v11, v26, v68
	v_mul_f32_e32 v13, v65, v71
	v_add_f32_e32 v3, v3, v28
	v_add_f32_e32 v2, v2, v15
	v_mul_f32_e32 v12, v27, v68
	v_fmac_f32_e32 v13, v64, v70
	v_mul_f32_e32 v17, v67, v73
	v_add_f32_e32 v3, v3, v20
	v_add_f32_e32 v2, v2, v11
	v_fma_f32 v12, v26, v69, -v12
	v_mul_f32_e32 v14, v65, v70
	v_fmac_f32_e32 v17, v66, v72
	v_mul_f32_e32 v21, v57, v75
	v_add_f32_e32 v3, v3, v16
	v_add_f32_e32 v2, v2, v13
	v_fma_f32 v14, v64, v71, -v14
	;; [unrolled: 6-line block ×5, first 2 shown]
	v_mul_f32_e32 v27, v49, v78
	v_fmac_f32_e32 v40, v50, v80
	v_add_f32_e32 v3, v3, v22
	v_add_f32_e32 v2, v2, v26
	v_fma_f32 v27, v48, v79, -v27
	v_mul_f32_e32 v41, v51, v80
	v_add_f32_e32 v3, v3, v25
	v_add_f32_e32 v2, v2, v40
	v_fma_f32 v41, v50, v81, -v41
	v_add_f32_e32 v3, v3, v27
	v_add_f32_e32 v2, v2, v42
	;; [unrolled: 1-line block ×3, first 2 shown]
	v_sub_f32_e32 v31, v31, v38
	v_mad_u64_u32 v[0:1], s[0:1], s10, v112, 0
	v_add_f32_e32 v3, v3, v41
	v_add_f32_e32 v2, v2, v37
	;; [unrolled: 1-line block ×3, first 2 shown]
	v_sub_f32_e32 v33, v33, v37
	v_mul_f32_e32 v37, 0xbeb8f4ab, v31
	v_mul_f32_e32 v44, 0x3f6eb680, v43
	v_mul_f32_e32 v46, 0xbf2c7751, v31
	v_mul_f32_e32 v48, 0x3f3d2fb0, v43
	v_mul_f32_e32 v50, 0xbf65296c, v31
	v_mul_f32_e32 v55, 0x3ee437d1, v43
	v_mul_f32_e32 v57, 0xbf7ee86f, v31
	v_mul_f32_e32 v59, 0x3dbcf732, v43
	v_mul_f32_e32 v61, 0xbf763a35, v31
	v_mul_f32_e32 v63, 0xbe8c1d8e, v43
	v_mul_f32_e32 v65, 0xbf4c4adb, v31
	v_mul_f32_e32 v67, 0xbf1a4643, v43
	v_mul_f32_e32 v69, 0xbf06c442, v31
	v_mul_f32_e32 v71, 0xbf59a7d5, v43
	v_mul_f32_e32 v31, 0xbe3c28d5, v31
	v_mul_f32_e32 v43, 0xbf7ba420, v43
	v_add_f32_e32 v3, v3, v36
	s_mov_b32 s4, 0x3f6eb680
	v_mov_b32_e32 v45, v44
	s_mov_b32 s2, 0x3f3d2fb0
	v_mov_b32_e32 v49, v48
	;; [unrolled: 2-line block ×8, first 2 shown]
	v_mov_b32_e32 v74, v43
	v_add_f32_e32 v3, v3, v38
	v_fma_f32 v38, v39, s4, -v37
	v_fmac_f32_e32 v37, 0x3f6eb680, v39
	v_fmac_f32_e32 v45, 0x3eb8f4ab, v33
	v_fmac_f32_e32 v44, 0xbeb8f4ab, v33
	v_fma_f32 v47, v39, s2, -v46
	v_fmac_f32_e32 v46, 0x3f3d2fb0, v39
	v_fmac_f32_e32 v49, 0x3f2c7751, v33
	v_fmac_f32_e32 v48, 0xbf2c7751, v33
	;; [unrolled: 4-line block ×7, first 2 shown]
	v_fmac_f32_e32 v73, 0xbf7ba420, v39
	v_fmac_f32_e32 v74, 0x3e3c28d5, v33
	v_fma_f32 v31, v39, s12, -v31
	v_fmac_f32_e32 v43, 0xbe3c28d5, v33
	v_add_f32_e32 v33, v34, v36
	v_sub_f32_e32 v34, v34, v36
	v_add_f32_e32 v37, v29, v37
	v_add_f32_e32 v38, v29, v38
	v_add_f32_e32 v46, v29, v46
	v_add_f32_e32 v47, v29, v47
	v_add_f32_e32 v50, v29, v50
	v_add_f32_e32 v51, v29, v51
	v_add_f32_e32 v57, v29, v57
	v_add_f32_e32 v58, v29, v58
	v_add_f32_e32 v61, v29, v61
	v_add_f32_e32 v62, v29, v62
	v_add_f32_e32 v65, v29, v65
	v_add_f32_e32 v66, v29, v66
	v_add_f32_e32 v69, v29, v69
	v_add_f32_e32 v70, v29, v70
	v_add_f32_e32 v73, v29, v73
	v_add_f32_e32 v29, v29, v31
	v_add_f32_e32 v31, v32, v42
	v_mul_f32_e32 v36, 0xbf2c7751, v34
	v_fma_f32 v39, v31, s2, -v36
	v_fmac_f32_e32 v36, 0x3f3d2fb0, v31
	v_sub_f32_e32 v32, v32, v42
	v_add_f32_e32 v36, v36, v37
	v_mul_f32_e32 v37, 0x3f3d2fb0, v33
	v_add_f32_e32 v38, v39, v38
	v_mul_f32_e32 v39, 0xbf7ee86f, v34
	v_add_f32_e32 v45, v30, v45
	v_add_f32_e32 v44, v30, v44
	v_add_f32_e32 v49, v30, v49
	v_add_f32_e32 v48, v30, v48
	v_add_f32_e32 v56, v30, v56
	v_add_f32_e32 v55, v30, v55
	v_add_f32_e32 v60, v30, v60
	v_add_f32_e32 v59, v30, v59
	v_add_f32_e32 v64, v30, v64
	v_add_f32_e32 v63, v30, v63
	v_add_f32_e32 v68, v30, v68
	v_add_f32_e32 v67, v30, v67
	v_add_f32_e32 v72, v30, v72
	v_add_f32_e32 v71, v30, v71
	v_add_f32_e32 v74, v30, v74
	v_add_f32_e32 v30, v30, v43
	v_mov_b32_e32 v42, v37
	v_fmac_f32_e32 v37, 0xbf2c7751, v32
	v_fma_f32 v43, v31, s0, -v39
	v_fmac_f32_e32 v39, 0x3dbcf732, v31
	v_fmac_f32_e32 v42, 0x3f2c7751, v32
	v_add_f32_e32 v37, v37, v44
	v_add_f32_e32 v39, v39, v46
	v_mul_f32_e32 v44, 0x3dbcf732, v33
	v_mul_f32_e32 v46, 0xbf4c4adb, v34
	v_add_f32_e32 v42, v42, v45
	v_mov_b32_e32 v45, v44
	v_add_f32_e32 v43, v43, v47
	v_fmac_f32_e32 v44, 0xbf7ee86f, v32
	v_fma_f32 v47, v31, s5, -v46
	v_fmac_f32_e32 v46, 0xbf1a4643, v31
	v_fmac_f32_e32 v45, 0x3f7ee86f, v32
	v_add_f32_e32 v44, v44, v48
	v_add_f32_e32 v46, v46, v50
	v_mul_f32_e32 v48, 0xbf1a4643, v33
	v_mul_f32_e32 v50, 0xbe3c28d5, v34
	v_add_f32_e32 v45, v45, v49
	v_mov_b32_e32 v49, v48
	v_add_f32_e32 v47, v47, v51
	;; [unrolled: 11-line block ×5, first 2 shown]
	v_fmac_f32_e32 v63, 0x3f763a35, v32
	v_fma_f32 v66, v31, s1, -v65
	v_fmac_f32_e32 v65, 0x3ee437d1, v31
	v_mul_f32_e32 v34, 0x3eb8f4ab, v34
	v_add_f32_e32 v63, v63, v67
	v_add_f32_e32 v65, v65, v69
	v_mul_f32_e32 v67, 0x3ee437d1, v33
	v_mov_b32_e32 v69, v34
	v_mul_f32_e32 v33, 0x3f6eb680, v33
	v_fmac_f32_e32 v64, 0xbf763a35, v32
	v_add_f32_e32 v66, v66, v70
	v_fmac_f32_e32 v69, 0x3f6eb680, v31
	v_mov_b32_e32 v70, v33
	v_fma_f32 v31, v31, s4, -v34
	v_fmac_f32_e32 v33, 0x3eb8f4ab, v32
	v_sub_f32_e32 v34, v52, v41
	v_add_f32_e32 v64, v64, v68
	v_mov_b32_e32 v68, v67
	v_add_f32_e32 v29, v31, v29
	v_add_f32_e32 v30, v33, v30
	;; [unrolled: 1-line block ×3, first 2 shown]
	v_sub_f32_e32 v33, v35, v40
	v_mul_f32_e32 v35, 0xbf65296c, v34
	v_fmac_f32_e32 v68, 0xbf65296c, v32
	v_fmac_f32_e32 v67, 0x3f65296c, v32
	;; [unrolled: 1-line block ×3, first 2 shown]
	v_add_f32_e32 v32, v52, v41
	v_fma_f32 v40, v31, s1, -v35
	v_fmac_f32_e32 v35, 0x3ee437d1, v31
	v_add_f32_e32 v35, v35, v36
	v_mul_f32_e32 v36, 0x3ee437d1, v32
	v_mov_b32_e32 v41, v36
	v_fmac_f32_e32 v36, 0xbf65296c, v33
	v_add_f32_e32 v36, v36, v37
	v_mul_f32_e32 v37, 0xbf4c4adb, v34
	v_add_f32_e32 v38, v40, v38
	v_fma_f32 v40, v31, s5, -v37
	v_fmac_f32_e32 v37, 0xbf1a4643, v31
	v_fmac_f32_e32 v41, 0x3f65296c, v33
	v_add_f32_e32 v37, v37, v39
	v_mul_f32_e32 v39, 0xbf1a4643, v32
	v_add_f32_e32 v41, v41, v42
	v_mov_b32_e32 v42, v39
	v_fmac_f32_e32 v42, 0x3f4c4adb, v33
	v_add_f32_e32 v40, v40, v43
	v_fmac_f32_e32 v39, 0xbf4c4adb, v33
	v_mul_f32_e32 v43, 0x3e3c28d5, v34
	v_add_f32_e32 v42, v42, v45
	v_add_f32_e32 v39, v39, v44
	v_fma_f32 v44, v31, s12, -v43
	v_fmac_f32_e32 v43, 0xbf7ba420, v31
	v_mul_f32_e32 v45, 0xbf7ba420, v32
	v_add_f32_e32 v43, v43, v46
	v_mov_b32_e32 v46, v45
	v_fmac_f32_e32 v46, 0xbe3c28d5, v33
	v_add_f32_e32 v44, v44, v47
	v_fmac_f32_e32 v45, 0x3e3c28d5, v33
	v_mul_f32_e32 v47, 0x3f763a35, v34
	v_add_f32_e32 v46, v46, v49
	v_add_f32_e32 v45, v45, v48
	v_fma_f32 v48, v31, s3, -v47
	v_fmac_f32_e32 v47, 0xbe8c1d8e, v31
	v_mul_f32_e32 v49, 0xbe8c1d8e, v32
	v_add_f32_e32 v47, v47, v50
	v_mov_b32_e32 v50, v49
	v_add_f32_e32 v48, v48, v51
	v_fmac_f32_e32 v49, 0x3f763a35, v33
	v_mul_f32_e32 v51, 0x3f2c7751, v34
	v_fmac_f32_e32 v50, 0xbf763a35, v33
	v_add_f32_e32 v49, v49, v55
	v_fma_f32 v52, v31, s2, -v51
	v_fmac_f32_e32 v51, 0x3f3d2fb0, v31
	v_mul_f32_e32 v55, 0x3f3d2fb0, v32
	v_add_f32_e32 v50, v50, v56
	v_add_f32_e32 v51, v51, v57
	v_mov_b32_e32 v56, v55
	v_fmac_f32_e32 v55, 0x3f2c7751, v33
	v_mul_f32_e32 v57, 0xbeb8f4ab, v34
	v_fmac_f32_e32 v56, 0xbf2c7751, v33
	v_add_f32_e32 v52, v52, v58
	v_add_f32_e32 v55, v55, v59
	v_fma_f32 v58, v31, s4, -v57
	v_fmac_f32_e32 v57, 0x3f6eb680, v31
	v_mul_f32_e32 v59, 0x3f6eb680, v32
	v_add_f32_e32 v56, v56, v60
	v_add_f32_e32 v57, v57, v61
	v_mov_b32_e32 v60, v59
	v_fmac_f32_e32 v59, 0xbeb8f4ab, v33
	v_mul_f32_e32 v61, 0xbf7ee86f, v34
	v_add_f32_e32 v58, v58, v62
	v_add_f32_e32 v59, v59, v63
	v_fma_f32 v62, v31, s0, -v61
	v_fmac_f32_e32 v61, 0x3dbcf732, v31
	v_mul_f32_e32 v63, 0x3dbcf732, v32
	v_mul_f32_e32 v34, 0xbf06c442, v34
	;; [unrolled: 1-line block ×3, first 2 shown]
	v_fmac_f32_e32 v60, 0x3eb8f4ab, v33
	v_add_f32_e32 v61, v61, v65
	v_add_f32_e32 v62, v62, v66
	v_mov_b32_e32 v65, v34
	v_mov_b32_e32 v66, v32
	v_fmac_f32_e32 v32, 0xbf06c442, v33
	v_add_f32_e32 v60, v60, v64
	v_mov_b32_e32 v64, v63
	v_fmac_f32_e32 v65, 0xbf59a7d5, v31
	v_fma_f32 v31, v31, s10, -v34
	v_add_f32_e32 v30, v32, v30
	v_add_f32_e32 v32, v54, v27
	v_sub_f32_e32 v27, v54, v27
	v_fmac_f32_e32 v64, 0x3f7ee86f, v33
	v_fmac_f32_e32 v63, 0xbf7ee86f, v33
	;; [unrolled: 1-line block ×3, first 2 shown]
	v_add_f32_e32 v29, v31, v29
	v_add_f32_e32 v31, v53, v26
	v_mul_f32_e32 v33, 0xbf7ee86f, v27
	v_fma_f32 v34, v31, s0, -v33
	v_fmac_f32_e32 v33, 0x3dbcf732, v31
	v_sub_f32_e32 v26, v53, v26
	v_add_f32_e32 v33, v33, v35
	v_mul_f32_e32 v35, 0x3dbcf732, v32
	v_mov_b32_e32 v53, v35
	v_fmac_f32_e32 v35, 0xbf7ee86f, v26
	v_add_f32_e32 v35, v35, v36
	v_mul_f32_e32 v36, 0xbe3c28d5, v27
	v_add_f32_e32 v34, v34, v38
	v_fma_f32 v38, v31, s12, -v36
	v_fmac_f32_e32 v36, 0xbf7ba420, v31
	v_fmac_f32_e32 v53, 0x3f7ee86f, v26
	v_add_f32_e32 v36, v36, v37
	v_mul_f32_e32 v37, 0xbf7ba420, v32
	v_add_f32_e32 v41, v53, v41
	v_mov_b32_e32 v53, v37
	v_fmac_f32_e32 v37, 0xbe3c28d5, v26
	v_add_f32_e32 v37, v37, v39
	v_mul_f32_e32 v39, 0x3f763a35, v27
	v_add_f32_e32 v38, v38, v40
	v_fma_f32 v40, v31, s3, -v39
	v_fmac_f32_e32 v39, 0xbe8c1d8e, v31
	v_fmac_f32_e32 v53, 0x3e3c28d5, v26
	v_add_f32_e32 v39, v39, v43
	v_mul_f32_e32 v43, 0xbe8c1d8e, v32
	v_add_f32_e32 v42, v53, v42
	v_mov_b32_e32 v53, v43
	v_add_f32_e32 v40, v40, v44
	v_fmac_f32_e32 v43, 0x3f763a35, v26
	v_mul_f32_e32 v44, 0x3eb8f4ab, v27
	v_add_f32_e32 v43, v43, v45
	v_fma_f32 v45, v31, s4, -v44
	v_fmac_f32_e32 v44, 0x3f6eb680, v31
	v_fmac_f32_e32 v53, 0xbf763a35, v26
	v_add_f32_e32 v44, v44, v47
	v_mul_f32_e32 v47, 0x3f6eb680, v32
	v_add_f32_e32 v46, v53, v46
	v_mov_b32_e32 v53, v47
	v_add_f32_e32 v45, v45, v48
	v_fmac_f32_e32 v47, 0x3eb8f4ab, v26
	v_mul_f32_e32 v48, 0xbf65296c, v27
	v_add_f32_e32 v47, v47, v49
	v_fma_f32 v49, v31, s1, -v48
	v_fmac_f32_e32 v48, 0x3ee437d1, v31
	v_fmac_f32_e32 v53, 0xbeb8f4ab, v26
	v_add_f32_e32 v48, v48, v51
	v_mul_f32_e32 v51, 0x3ee437d1, v32
	v_add_f32_e32 v49, v49, v52
	v_mul_f32_e32 v52, 0xbf06c442, v27
	v_add_f32_e32 v50, v53, v50
	v_mov_b32_e32 v53, v51
	v_fmac_f32_e32 v51, 0xbf65296c, v26
	v_fma_f32 v54, v31, s10, -v52
	v_fmac_f32_e32 v52, 0xbf59a7d5, v31
	v_fmac_f32_e32 v53, 0x3f65296c, v26
	v_add_f32_e32 v51, v51, v55
	v_add_f32_e32 v52, v52, v57
	v_mul_f32_e32 v55, 0xbf59a7d5, v32
	v_mul_f32_e32 v57, 0x3f4c4adb, v27
	v_add_f32_e32 v53, v53, v56
	v_mov_b32_e32 v56, v55
	v_add_f32_e32 v54, v54, v58
	v_fmac_f32_e32 v55, 0xbf06c442, v26
	v_fma_f32 v58, v31, s5, -v57
	v_fmac_f32_e32 v57, 0xbf1a4643, v31
	v_mul_f32_e32 v27, 0x3f2c7751, v27
	v_fmac_f32_e32 v56, 0x3f06c442, v26
	v_add_f32_e32 v55, v55, v59
	v_add_f32_e32 v57, v57, v61
	v_mul_f32_e32 v59, 0xbf1a4643, v32
	v_mov_b32_e32 v61, v27
	v_mul_f32_e32 v32, 0x3f3d2fb0, v32
	v_fma_f32 v27, v31, s2, -v27
	v_add_f32_e32 v56, v56, v60
	v_mov_b32_e32 v60, v59
	v_add_f32_e32 v58, v58, v62
	v_mov_b32_e32 v62, v32
	v_add_f32_e32 v27, v27, v29
	v_fmac_f32_e32 v32, 0x3f2c7751, v26
	v_add_f32_e32 v29, v23, v24
	v_sub_f32_e32 v23, v23, v24
	v_sub_f32_e32 v24, v28, v25
	v_fmac_f32_e32 v60, 0xbf4c4adb, v26
	v_fmac_f32_e32 v59, 0x3f4c4adb, v26
	;; [unrolled: 1-line block ×3, first 2 shown]
	v_add_f32_e32 v26, v32, v30
	v_add_f32_e32 v30, v28, v25
	v_mul_f32_e32 v25, 0xbf763a35, v24
	v_fmac_f32_e32 v61, 0x3f3d2fb0, v31
	v_fma_f32 v28, v29, s3, -v25
	v_fmac_f32_e32 v25, 0xbe8c1d8e, v29
	v_mul_f32_e32 v31, 0xbe8c1d8e, v30
	v_add_f32_e32 v25, v25, v33
	v_mov_b32_e32 v32, v31
	v_fmac_f32_e32 v31, 0xbf763a35, v23
	v_mul_f32_e32 v33, 0x3f06c442, v24
	v_add_f32_e32 v28, v28, v34
	v_add_f32_e32 v31, v31, v35
	v_fma_f32 v34, v29, s10, -v33
	v_fmac_f32_e32 v33, 0xbf59a7d5, v29
	v_mul_f32_e32 v35, 0xbf59a7d5, v30
	v_add_f32_e32 v33, v33, v36
	v_mov_b32_e32 v36, v35
	v_fmac_f32_e32 v35, 0x3f06c442, v23
	v_add_f32_e32 v35, v35, v37
	v_mul_f32_e32 v37, 0x3f2c7751, v24
	v_add_f32_e32 v34, v34, v38
	v_fma_f32 v38, v29, s2, -v37
	v_fmac_f32_e32 v37, 0x3f3d2fb0, v29
	v_fmac_f32_e32 v32, 0x3f763a35, v23
	v_add_f32_e32 v37, v37, v39
	v_mul_f32_e32 v39, 0x3f3d2fb0, v30
	v_add_f32_e32 v32, v32, v41
	v_fmac_f32_e32 v36, 0xbf06c442, v23
	v_mov_b32_e32 v41, v39
	v_add_f32_e32 v38, v38, v40
	v_fmac_f32_e32 v39, 0x3f2c7751, v23
	v_mul_f32_e32 v40, 0xbf65296c, v24
	v_add_f32_e32 v36, v36, v42
	v_add_f32_e32 v39, v39, v43
	v_fma_f32 v42, v29, s1, -v40
	v_fmac_f32_e32 v40, 0x3ee437d1, v29
	v_mul_f32_e32 v43, 0x3ee437d1, v30
	v_fmac_f32_e32 v41, 0xbf2c7751, v23
	v_add_f32_e32 v40, v40, v44
	v_mov_b32_e32 v44, v43
	v_add_f32_e32 v42, v42, v45
	v_fmac_f32_e32 v43, 0xbf65296c, v23
	v_mul_f32_e32 v45, 0xbe3c28d5, v24
	v_add_f32_e32 v41, v41, v46
	v_add_f32_e32 v43, v43, v47
	v_fma_f32 v46, v29, s12, -v45
	v_fmac_f32_e32 v45, 0xbf7ba420, v29
	v_mul_f32_e32 v47, 0xbf7ba420, v30
	v_add_f32_e32 v45, v45, v48
	v_mov_b32_e32 v48, v47
	v_fmac_f32_e32 v44, 0x3f65296c, v23
	v_fmac_f32_e32 v48, 0x3e3c28d5, v23
	v_add_f32_e32 v46, v46, v49
	v_fmac_f32_e32 v47, 0xbe3c28d5, v23
	v_mul_f32_e32 v49, 0x3f7ee86f, v24
	v_add_f32_e32 v44, v44, v50
	v_add_f32_e32 v48, v48, v53
	;; [unrolled: 1-line block ×3, first 2 shown]
	v_fma_f32 v50, v29, s0, -v49
	v_fmac_f32_e32 v49, 0x3dbcf732, v29
	v_mul_f32_e32 v51, 0x3dbcf732, v30
	v_mul_f32_e32 v53, 0xbeb8f4ab, v24
	v_add_f32_e32 v49, v49, v52
	v_mov_b32_e32 v52, v51
	v_add_f32_e32 v50, v50, v54
	v_fmac_f32_e32 v51, 0x3f7ee86f, v23
	v_fma_f32 v54, v29, s4, -v53
	v_fmac_f32_e32 v53, 0x3f6eb680, v29
	v_mul_f32_e32 v24, 0xbf4c4adb, v24
	v_fmac_f32_e32 v52, 0xbf7ee86f, v23
	v_add_f32_e32 v51, v51, v55
	v_add_f32_e32 v53, v53, v57
	v_mul_f32_e32 v55, 0x3f6eb680, v30
	v_mov_b32_e32 v57, v24
	v_mul_f32_e32 v30, 0xbf1a4643, v30
	v_fma_f32 v24, v29, s5, -v24
	v_add_f32_e32 v52, v52, v56
	v_mov_b32_e32 v56, v55
	v_add_f32_e32 v54, v54, v58
	v_mov_b32_e32 v58, v30
	v_add_f32_e32 v24, v24, v27
	v_fmac_f32_e32 v30, 0xbf4c4adb, v23
	v_add_f32_e32 v27, v20, v22
	v_sub_f32_e32 v20, v20, v22
	v_fmac_f32_e32 v56, 0x3eb8f4ab, v23
	v_fmac_f32_e32 v55, 0xbeb8f4ab, v23
	;; [unrolled: 1-line block ×3, first 2 shown]
	v_add_f32_e32 v23, v30, v26
	v_add_f32_e32 v26, v19, v21
	v_sub_f32_e32 v19, v19, v21
	v_mul_f32_e32 v21, 0xbf4c4adb, v20
	v_fma_f32 v22, v26, s5, -v21
	v_fmac_f32_e32 v21, 0xbf1a4643, v26
	v_add_f32_e32 v21, v21, v25
	v_mul_f32_e32 v25, 0xbf1a4643, v27
	v_fmac_f32_e32 v57, 0xbf1a4643, v29
	v_mov_b32_e32 v29, v25
	v_fmac_f32_e32 v25, 0xbf4c4adb, v19
	v_fmac_f32_e32 v29, 0x3f4c4adb, v19
	v_add_f32_e32 v22, v22, v28
	v_add_f32_e32 v25, v25, v31
	v_mul_f32_e32 v28, 0x3f763a35, v20
	v_mul_f32_e32 v31, 0xbe8c1d8e, v27
	v_add_f32_e32 v29, v29, v32
	v_fma_f32 v30, v26, s3, -v28
	v_fmac_f32_e32 v28, 0xbe8c1d8e, v26
	v_mov_b32_e32 v32, v31
	v_fmac_f32_e32 v31, 0x3f763a35, v19
	v_add_f32_e32 v28, v28, v33
	v_fmac_f32_e32 v32, 0xbf763a35, v19
	v_add_f32_e32 v31, v31, v35
	v_mul_f32_e32 v33, 0xbeb8f4ab, v20
	v_mul_f32_e32 v35, 0x3f6eb680, v27
	v_add_f32_e32 v32, v32, v36
	v_add_f32_e32 v30, v30, v34
	v_fma_f32 v34, v26, s4, -v33
	v_fmac_f32_e32 v33, 0x3f6eb680, v26
	v_mov_b32_e32 v36, v35
	v_add_f32_e32 v33, v33, v37
	v_fmac_f32_e32 v36, 0x3eb8f4ab, v19
	v_fmac_f32_e32 v35, 0xbeb8f4ab, v19
	v_mul_f32_e32 v37, 0xbf06c442, v20
	v_add_f32_e32 v36, v36, v41
	v_add_f32_e32 v34, v34, v38
	;; [unrolled: 1-line block ×3, first 2 shown]
	v_fma_f32 v38, v26, s10, -v37
	v_fmac_f32_e32 v37, 0xbf59a7d5, v26
	v_mul_f32_e32 v39, 0xbf59a7d5, v27
	v_mul_f32_e32 v41, 0x3f7ee86f, v20
	v_add_f32_e32 v37, v37, v40
	v_mov_b32_e32 v40, v39
	v_add_f32_e32 v38, v38, v42
	v_fmac_f32_e32 v39, 0xbf06c442, v19
	v_fma_f32 v42, v26, s0, -v41
	v_fmac_f32_e32 v41, 0x3dbcf732, v26
	v_fmac_f32_e32 v40, 0x3f06c442, v19
	v_add_f32_e32 v39, v39, v43
	v_add_f32_e32 v41, v41, v45
	v_mul_f32_e32 v43, 0x3dbcf732, v27
	v_mul_f32_e32 v45, 0xbf2c7751, v20
	v_add_f32_e32 v40, v40, v44
	v_mov_b32_e32 v44, v43
	v_add_f32_e32 v42, v42, v46
	v_fmac_f32_e32 v43, 0x3f7ee86f, v19
	v_fma_f32 v46, v26, s2, -v45
	v_fmac_f32_e32 v45, 0x3f3d2fb0, v26
	v_fmac_f32_e32 v44, 0xbf7ee86f, v19
	v_add_f32_e32 v43, v43, v47
	v_add_f32_e32 v45, v45, v49
	v_mul_f32_e32 v47, 0x3f3d2fb0, v27
	v_mul_f32_e32 v49, 0xbe3c28d5, v20
	v_add_f32_e32 v44, v44, v48
	v_mov_b32_e32 v48, v47
	v_add_f32_e32 v46, v46, v50
	v_fmac_f32_e32 v47, 0xbf2c7751, v19
	v_fma_f32 v50, v26, s12, -v49
	v_fmac_f32_e32 v49, 0xbf7ba420, v26
	v_mul_f32_e32 v20, 0x3f65296c, v20
	v_fmac_f32_e32 v48, 0x3f2c7751, v19
	v_add_f32_e32 v47, v47, v51
	v_add_f32_e32 v49, v49, v53
	v_mul_f32_e32 v51, 0xbf7ba420, v27
	v_mov_b32_e32 v53, v20
	v_mul_f32_e32 v27, 0x3ee437d1, v27
	v_fma_f32 v20, v26, s1, -v20
	v_add_f32_e32 v48, v48, v52
	v_mov_b32_e32 v52, v51
	v_add_f32_e32 v50, v50, v54
	v_mov_b32_e32 v54, v27
	v_add_f32_e32 v20, v20, v24
	v_fmac_f32_e32 v27, 0x3f65296c, v19
	v_add_f32_e32 v24, v16, v18
	v_sub_f32_e32 v16, v16, v18
	v_fmac_f32_e32 v52, 0x3e3c28d5, v19
	v_fmac_f32_e32 v51, 0xbe3c28d5, v19
	;; [unrolled: 1-line block ×3, first 2 shown]
	v_add_f32_e32 v19, v27, v23
	v_add_f32_e32 v23, v15, v17
	v_sub_f32_e32 v15, v15, v17
	v_mul_f32_e32 v17, 0xbf06c442, v16
	v_fma_f32 v18, v23, s10, -v17
	v_fmac_f32_e32 v17, 0xbf59a7d5, v23
	v_add_f32_e32 v17, v17, v21
	v_mul_f32_e32 v21, 0xbf59a7d5, v24
	v_fmac_f32_e32 v53, 0x3ee437d1, v26
	v_mov_b32_e32 v26, v21
	v_fmac_f32_e32 v26, 0x3f06c442, v15
	v_add_f32_e32 v18, v18, v22
	v_fmac_f32_e32 v21, 0xbf06c442, v15
	v_mul_f32_e32 v22, 0x3f65296c, v16
	v_add_f32_e32 v26, v26, v29
	v_add_f32_e32 v21, v21, v25
	v_fma_f32 v25, v23, s1, -v22
	v_fmac_f32_e32 v22, 0x3ee437d1, v23
	v_mul_f32_e32 v27, 0x3ee437d1, v24
	v_mul_f32_e32 v29, 0xbf7ee86f, v16
	v_add_f32_e32 v22, v22, v28
	v_mov_b32_e32 v28, v27
	v_add_f32_e32 v25, v25, v30
	v_fmac_f32_e32 v27, 0x3f65296c, v15
	v_fma_f32 v30, v23, s0, -v29
	v_fmac_f32_e32 v29, 0x3dbcf732, v23
	v_fmac_f32_e32 v28, 0xbf65296c, v15
	v_add_f32_e32 v27, v27, v31
	v_add_f32_e32 v29, v29, v33
	v_mul_f32_e32 v31, 0x3dbcf732, v24
	v_mul_f32_e32 v33, 0x3f4c4adb, v16
	v_add_f32_e32 v28, v28, v32
	v_mov_b32_e32 v32, v31
	v_add_f32_e32 v30, v30, v34
	v_fmac_f32_e32 v31, 0xbf7ee86f, v15
	v_fma_f32 v34, v23, s5, -v33
	v_fmac_f32_e32 v33, 0xbf1a4643, v23
	v_fmac_f32_e32 v32, 0x3f7ee86f, v15
	v_add_f32_e32 v31, v31, v35
	v_add_f32_e32 v33, v33, v37
	;; [unrolled: 11-line block ×3, first 2 shown]
	v_mul_f32_e32 v39, 0x3f6eb680, v24
	v_mul_f32_e32 v41, 0xbe3c28d5, v16
	v_add_f32_e32 v68, v68, v72
	v_add_f32_e32 v69, v69, v73
	;; [unrolled: 1-line block ×3, first 2 shown]
	v_mov_b32_e32 v40, v39
	v_add_f32_e32 v38, v38, v42
	v_fmac_f32_e32 v39, 0xbeb8f4ab, v15
	v_fma_f32 v42, v23, s12, -v41
	v_fmac_f32_e32 v41, 0xbf7ba420, v23
	v_add_f32_e32 v67, v67, v71
	v_add_f32_e32 v70, v70, v74
	;; [unrolled: 1-line block ×4, first 2 shown]
	v_fmac_f32_e32 v40, 0x3eb8f4ab, v15
	v_add_f32_e32 v39, v39, v43
	v_add_f32_e32 v41, v41, v45
	v_mul_f32_e32 v43, 0xbf7ba420, v24
	v_mul_f32_e32 v45, 0x3f2c7751, v16
	v_add_f32_e32 v63, v63, v67
	v_add_f32_e32 v66, v66, v70
	;; [unrolled: 1-line block ×5, first 2 shown]
	v_mov_b32_e32 v44, v43
	v_add_f32_e32 v42, v42, v46
	v_fmac_f32_e32 v43, 0xbe3c28d5, v15
	v_fma_f32 v46, v23, s2, -v45
	v_fmac_f32_e32 v45, 0x3f3d2fb0, v23
	v_mul_f32_e32 v16, 0xbf763a35, v16
	v_add_f32_e32 v59, v59, v63
	v_add_f32_e32 v62, v62, v66
	;; [unrolled: 1-line block ×6, first 2 shown]
	v_mul_f32_e32 v47, 0x3f3d2fb0, v24
	v_mov_b32_e32 v49, v16
	v_mul_f32_e32 v24, 0xbe8c1d8e, v24
	v_add_f32_e32 v55, v55, v59
	v_add_f32_e32 v58, v58, v62
	;; [unrolled: 1-line block ×4, first 2 shown]
	v_fmac_f32_e32 v44, 0x3e3c28d5, v15
	v_add_f32_e32 v46, v46, v50
	v_fmac_f32_e32 v49, 0xbe8c1d8e, v23
	v_mov_b32_e32 v50, v24
	v_sub_f32_e32 v56, v12, v14
	v_add_f32_e32 v51, v51, v55
	v_add_f32_e32 v54, v54, v58
	;; [unrolled: 1-line block ×3, first 2 shown]
	v_mov_b32_e32 v48, v47
	v_add_f32_e32 v49, v49, v53
	v_fmac_f32_e32 v50, 0x3f763a35, v15
	v_add_f32_e32 v53, v11, v13
	v_sub_f32_e32 v55, v11, v13
	v_mul_f32_e32 v11, 0xbe3c28d5, v56
	v_fmac_f32_e32 v48, 0xbf2c7751, v15
	v_fmac_f32_e32 v47, 0x3f2c7751, v15
	v_add_f32_e32 v50, v50, v54
	v_fmac_f32_e32 v24, 0xbf763a35, v15
	v_add_f32_e32 v54, v12, v14
	v_fma_f32 v13, v53, s12, -v11
	v_fmac_f32_e32 v11, 0xbf7ba420, v53
	v_mul_f32_e32 v15, 0x3eb8f4ab, v56
	v_add_f32_e32 v11, v11, v17
	v_mul_f32_e32 v14, 0xbf7ba420, v54
	v_fma_f32 v17, v53, s4, -v15
	v_fmac_f32_e32 v15, 0x3f6eb680, v53
	v_add_f32_e32 v48, v48, v52
	v_fma_f32 v16, v23, s3, -v16
	v_add_f32_e32 v52, v24, v19
	v_mov_b32_e32 v12, v14
	v_add_f32_e32 v13, v13, v18
	v_fmac_f32_e32 v14, 0xbe3c28d5, v55
	v_add_f32_e32 v15, v15, v22
	v_mul_f32_e32 v18, 0x3f6eb680, v54
	v_mul_f32_e32 v19, 0xbf06c442, v56
	;; [unrolled: 1-line block ×3, first 2 shown]
	v_add_f32_e32 v47, v47, v51
	v_add_f32_e32 v51, v16, v20
	v_fmac_f32_e32 v12, 0x3e3c28d5, v55
	v_add_f32_e32 v14, v14, v21
	v_mov_b32_e32 v16, v18
	v_fmac_f32_e32 v18, 0x3eb8f4ab, v55
	v_fma_f32 v21, v53, s10, -v19
	v_mov_b32_e32 v20, v22
	v_fmac_f32_e32 v22, 0xbf06c442, v55
	v_mul_f32_e32 v23, 0x3f2c7751, v56
	v_add_f32_e32 v12, v12, v26
	v_fmac_f32_e32 v16, 0xbeb8f4ab, v55
	v_add_f32_e32 v17, v17, v25
	v_add_f32_e32 v18, v18, v27
	v_fmac_f32_e32 v19, 0xbf59a7d5, v53
	v_add_f32_e32 v21, v21, v30
	v_add_f32_e32 v22, v22, v31
	v_fma_f32 v25, v53, s2, -v23
	v_fmac_f32_e32 v23, 0x3f3d2fb0, v53
	v_mul_f32_e32 v26, 0x3f3d2fb0, v54
	v_mul_f32_e32 v27, 0xbf4c4adb, v56
	;; [unrolled: 1-line block ×4, first 2 shown]
	v_add_f32_e32 v16, v16, v28
	v_add_f32_e32 v19, v19, v29
	;; [unrolled: 1-line block ×3, first 2 shown]
	v_mov_b32_e32 v24, v26
	v_fma_f32 v29, v53, s5, -v27
	v_mov_b32_e32 v28, v30
	v_fma_f32 v33, v53, s1, -v31
	v_fmac_f32_e32 v31, 0x3ee437d1, v53
	v_fmac_f32_e32 v20, 0x3f06c442, v55
	;; [unrolled: 1-line block ×3, first 2 shown]
	v_add_f32_e32 v25, v25, v34
	v_fmac_f32_e32 v26, 0x3f2c7751, v55
	v_fmac_f32_e32 v28, 0x3f4c4adb, v55
	v_add_f32_e32 v29, v29, v38
	v_fmac_f32_e32 v30, 0xbf4c4adb, v55
	v_add_f32_e32 v31, v31, v41
	v_mul_f32_e32 v34, 0x3ee437d1, v54
	v_add_f32_e32 v33, v33, v42
	v_mul_f32_e32 v38, 0xbe8c1d8e, v54
	v_mul_f32_e32 v41, 0x3f7ee86f, v56
	;; [unrolled: 1-line block ×3, first 2 shown]
	v_add_f32_e32 v20, v20, v32
	v_add_f32_e32 v24, v24, v36
	;; [unrolled: 1-line block ×3, first 2 shown]
	v_fmac_f32_e32 v27, 0xbf1a4643, v53
	v_add_f32_e32 v28, v28, v40
	v_add_f32_e32 v30, v30, v39
	v_mov_b32_e32 v32, v34
	v_mul_f32_e32 v35, 0xbf763a35, v56
	v_mov_b32_e32 v36, v38
	v_mov_b32_e32 v39, v41
	;; [unrolled: 1-line block ×3, first 2 shown]
	v_add_f32_e32 v27, v27, v37
	v_fmac_f32_e32 v32, 0xbf65296c, v55
	v_fmac_f32_e32 v34, 0x3f65296c, v55
	v_fma_f32 v37, v53, s3, -v35
	v_fmac_f32_e32 v35, 0xbe8c1d8e, v53
	v_fmac_f32_e32 v36, 0x3f763a35, v55
	v_fmac_f32_e32 v38, 0xbf763a35, v55
	v_fmac_f32_e32 v39, 0x3dbcf732, v53
	v_fmac_f32_e32 v40, 0xbf7ee86f, v55
	v_fma_f32 v41, v53, s0, -v41
	v_fmac_f32_e32 v42, 0x3f7ee86f, v55
	v_add_f32_e32 v32, v32, v44
	v_add_f32_e32 v34, v34, v43
	;; [unrolled: 1-line block ×10, first 2 shown]
	ds_write2_b64 v145, v[2:3], v[11:12] offset1:119
	ds_write2_b64 v10, v[15:16], v[19:20] offset0:110 offset1:229
	ds_write2_b64 v9, v[23:24], v[27:28] offset0:92 offset1:211
	;; [unrolled: 1-line block ×7, first 2 shown]
	ds_write_b64 v145, v[13:14] offset:15232
	s_waitcnt lgkmcnt(0)
	s_barrier
	ds_read2_b64 v[11:14], v145 offset1:119
	s_mov_b32 s0, 0x2e50bc4c
	s_mov_b32 s1, 0x3f40329e
	v_mad_u64_u32 v[15:16], s[2:3], s8, v146, 0
	s_waitcnt lgkmcnt(0)
	v_mul_f32_e32 v2, v130, v12
	v_fmac_f32_e32 v2, v129, v11
	v_cvt_f64_f32_e32 v[2:3], v2
	v_mul_f32_e32 v11, v130, v11
	v_fma_f32 v11, v129, v12, -v11
	v_cvt_f64_f32_e32 v[11:12], v11
	v_mul_f64 v[2:3], v[2:3], s[0:1]
	v_mul_f64 v[11:12], v[11:12], s[0:1]
	v_mad_u64_u32 v[17:18], s[2:3], s11, v112, v[1:2]
	v_mov_b32_e32 v1, v16
	v_mad_u64_u32 v[18:19], s[2:3], s9, v146, v[1:2]
	v_cvt_f32_f64_e32 v2, v[2:3]
	v_cvt_f32_f64_e32 v3, v[11:12]
	v_mul_f32_e32 v11, v128, v14
	v_mov_b32_e32 v1, v17
	v_fmac_f32_e32 v11, v127, v13
	v_lshlrev_b64 v[0:1], 3, v[0:1]
	v_cvt_f64_f32_e32 v[11:12], v11
	v_mov_b32_e32 v16, v18
	v_mov_b32_e32 v17, s7
	v_add_co_u32_e32 v18, vcc, s6, v0
	v_mul_f32_e32 v13, v128, v13
	v_addc_co_u32_e32 v17, vcc, v17, v1, vcc
	v_lshlrev_b64 v[0:1], 3, v[15:16]
	v_fma_f32 v13, v127, v14, -v13
	v_mul_f64 v[11:12], v[11:12], s[0:1]
	v_cvt_f64_f32_e32 v[13:14], v13
	v_add_co_u32_e32 v15, vcc, v18, v0
	v_addc_co_u32_e32 v16, vcc, v17, v1, vcc
	global_store_dwordx2 v[15:16], v[2:3], off
	ds_read2_b64 v[0:3], v10 offset0:110 offset1:229
	v_mul_f64 v[13:14], v[13:14], s[0:1]
	v_cvt_f32_f64_e32 v10, v[11:12]
	s_mul_i32 s2, s9, 0x3b8
	s_mul_hi_u32 s3, s8, 0x3b8
	s_waitcnt lgkmcnt(0)
	v_mul_f32_e32 v12, v124, v1
	v_fmac_f32_e32 v12, v123, v0
	v_mul_f32_e32 v0, v124, v0
	v_fma_f32 v0, v123, v1, -v0
	v_cvt_f64_f32_e32 v[0:1], v0
	v_cvt_f32_f64_e32 v11, v[13:14]
	v_cvt_f64_f32_e32 v[12:13], v12
	s_add_i32 s2, s3, s2
	v_mul_f64 v[0:1], v[0:1], s[0:1]
	s_mul_i32 s3, s8, 0x3b8
	v_mul_f64 v[12:13], v[12:13], s[0:1]
	v_mov_b32_e32 v17, s2
	v_add_co_u32_e32 v14, vcc, s3, v15
	v_addc_co_u32_e32 v15, vcc, v16, v17, vcc
	global_store_dwordx2 v[14:15], v[10:11], off
	v_cvt_f32_f64_e32 v11, v[0:1]
	v_mul_f32_e32 v0, v118, v3
	v_fmac_f32_e32 v0, v117, v2
	v_cvt_f32_f64_e32 v10, v[12:13]
	v_cvt_f64_f32_e32 v[12:13], v0
	v_mul_f32_e32 v0, v118, v2
	v_fma_f32 v0, v117, v3, -v0
	v_cvt_f64_f32_e32 v[16:17], v0
	ds_read2_b64 v[0:3], v9 offset0:92 offset1:211
	v_mov_b32_e32 v18, s2
	v_add_co_u32_e32 v14, vcc, s3, v14
	v_addc_co_u32_e32 v15, vcc, v15, v18, vcc
	global_store_dwordx2 v[14:15], v[10:11], off
	v_mul_f64 v[9:10], v[12:13], s[0:1]
	s_waitcnt lgkmcnt(0)
	v_mul_f32_e32 v13, v116, v1
	v_mul_f64 v[11:12], v[16:17], s[0:1]
	v_fmac_f32_e32 v13, v115, v0
	v_mul_f32_e32 v0, v116, v0
	v_fma_f32 v0, v115, v1, -v0
	v_cvt_f64_f32_e32 v[0:1], v0
	v_cvt_f64_f32_e32 v[16:17], v13
	v_cvt_f32_f64_e32 v9, v[9:10]
	v_add_co_u32_e32 v13, vcc, s3, v14
	v_mul_f64 v[0:1], v[0:1], s[0:1]
	v_cvt_f32_f64_e32 v10, v[11:12]
	v_mul_f64 v[11:12], v[16:17], s[0:1]
	v_mov_b32_e32 v16, s2
	v_addc_co_u32_e32 v14, vcc, v15, v16, vcc
	global_store_dwordx2 v[13:14], v[9:10], off
	v_mov_b32_e32 v17, s2
	v_cvt_f32_f64_e32 v10, v[0:1]
	v_mul_f32_e32 v0, v126, v3
	v_fmac_f32_e32 v0, v125, v2
	v_cvt_f32_f64_e32 v9, v[11:12]
	v_cvt_f64_f32_e32 v[11:12], v0
	v_mul_f32_e32 v0, v126, v2
	v_fma_f32 v0, v125, v3, -v0
	v_cvt_f64_f32_e32 v[15:16], v0
	ds_read2_b64 v[0:3], v8 offset0:74 offset1:193
	v_add_co_u32_e32 v13, vcc, s3, v13
	v_addc_co_u32_e32 v14, vcc, v14, v17, vcc
	global_store_dwordx2 v[13:14], v[9:10], off
	v_mul_f64 v[8:9], v[11:12], s[0:1]
	s_waitcnt lgkmcnt(0)
	v_mul_f32_e32 v12, v122, v1
	v_mul_f64 v[10:11], v[15:16], s[0:1]
	v_fmac_f32_e32 v12, v121, v0
	v_mul_f32_e32 v0, v122, v0
	v_fma_f32 v0, v121, v1, -v0
	v_cvt_f64_f32_e32 v[0:1], v0
	v_cvt_f64_f32_e32 v[15:16], v12
	v_cvt_f32_f64_e32 v8, v[8:9]
	v_add_co_u32_e32 v12, vcc, s3, v13
	v_mul_f64 v[0:1], v[0:1], s[0:1]
	v_cvt_f32_f64_e32 v9, v[10:11]
	v_mul_f64 v[10:11], v[15:16], s[0:1]
	v_mov_b32_e32 v15, s2
	v_addc_co_u32_e32 v13, vcc, v14, v15, vcc
	global_store_dwordx2 v[12:13], v[8:9], off
	v_mov_b32_e32 v16, s2
	v_cvt_f32_f64_e32 v9, v[0:1]
	v_mul_f32_e32 v0, v114, v3
	v_fmac_f32_e32 v0, v113, v2
	v_cvt_f32_f64_e32 v8, v[10:11]
	v_cvt_f64_f32_e32 v[10:11], v0
	v_mul_f32_e32 v0, v114, v2
	v_fma_f32 v0, v113, v3, -v0
	v_cvt_f64_f32_e32 v[14:15], v0
	ds_read2_b64 v[0:3], v7 offset0:56 offset1:175
	;; [unrolled: 30-line block ×5, first 2 shown]
	v_add_co_u32_e32 v9, vcc, s3, v9
	v_addc_co_u32_e32 v10, vcc, v10, v13, vcc
	global_store_dwordx2 v[9:10], v[5:6], off
	v_mul_f64 v[4:5], v[7:8], s[0:1]
	s_waitcnt lgkmcnt(0)
	v_mul_f32_e32 v8, v101, v1
	v_fmac_f32_e32 v8, v100, v0
	v_mul_f32_e32 v0, v101, v0
	v_mul_f64 v[6:7], v[11:12], s[0:1]
	v_fma_f32 v0, v100, v1, -v0
	v_cvt_f64_f32_e32 v[0:1], v0
	v_cvt_f64_f32_e32 v[11:12], v8
	v_cvt_f32_f64_e32 v4, v[4:5]
	v_add_co_u32_e32 v8, vcc, s3, v9
	v_mul_f64 v[0:1], v[0:1], s[0:1]
	v_cvt_f32_f64_e32 v5, v[6:7]
	v_mul_f64 v[6:7], v[11:12], s[0:1]
	v_mov_b32_e32 v11, s2
	v_addc_co_u32_e32 v9, vcc, v10, v11, vcc
	global_store_dwordx2 v[8:9], v[4:5], off
	v_mov_b32_e32 v10, s2
	v_cvt_f32_f64_e32 v5, v[0:1]
	v_mul_f32_e32 v0, v99, v3
	v_fmac_f32_e32 v0, v98, v2
	v_mul_f32_e32 v2, v99, v2
	v_fma_f32 v2, v98, v3, -v2
	v_cvt_f32_f64_e32 v4, v[6:7]
	v_cvt_f64_f32_e32 v[0:1], v0
	v_cvt_f64_f32_e32 v[2:3], v2
	ds_read_b64 v[6:7], v145 offset:15232
	v_add_co_u32_e32 v8, vcc, s3, v8
	v_addc_co_u32_e32 v9, vcc, v9, v10, vcc
	v_mul_f64 v[0:1], v[0:1], s[0:1]
	v_mul_f64 v[2:3], v[2:3], s[0:1]
	global_store_dwordx2 v[8:9], v[4:5], off
	s_waitcnt lgkmcnt(0)
	v_mul_f32_e32 v4, v97, v7
	v_fmac_f32_e32 v4, v96, v6
	v_mul_f32_e32 v6, v97, v6
	v_fma_f32 v6, v96, v7, -v6
	v_cvt_f64_f32_e32 v[4:5], v4
	v_cvt_f64_f32_e32 v[6:7], v6
	v_cvt_f32_f64_e32 v0, v[0:1]
	v_cvt_f32_f64_e32 v1, v[2:3]
	v_mul_f64 v[2:3], v[4:5], s[0:1]
	v_mul_f64 v[4:5], v[6:7], s[0:1]
	v_mov_b32_e32 v7, s2
	v_add_co_u32_e32 v6, vcc, s3, v8
	v_addc_co_u32_e32 v7, vcc, v9, v7, vcc
	global_store_dwordx2 v[6:7], v[0:1], off
	v_cvt_f32_f64_e32 v0, v[2:3]
	v_cvt_f32_f64_e32 v1, v[4:5]
	v_mov_b32_e32 v3, s2
	v_add_co_u32_e32 v2, vcc, s3, v6
	v_addc_co_u32_e32 v3, vcc, v7, v3, vcc
	global_store_dwordx2 v[2:3], v[0:1], off
.LBB0_10:
	s_endpgm
	.section	.rodata,"a",@progbits
	.p2align	6, 0x0
	.amdhsa_kernel bluestein_single_fwd_len2023_dim1_sp_op_CI_CI
		.amdhsa_group_segment_fixed_size 16184
		.amdhsa_private_segment_fixed_size 0
		.amdhsa_kernarg_size 104
		.amdhsa_user_sgpr_count 6
		.amdhsa_user_sgpr_private_segment_buffer 1
		.amdhsa_user_sgpr_dispatch_ptr 0
		.amdhsa_user_sgpr_queue_ptr 0
		.amdhsa_user_sgpr_kernarg_segment_ptr 1
		.amdhsa_user_sgpr_dispatch_id 0
		.amdhsa_user_sgpr_flat_scratch_init 0
		.amdhsa_user_sgpr_private_segment_size 0
		.amdhsa_uses_dynamic_stack 0
		.amdhsa_system_sgpr_private_segment_wavefront_offset 0
		.amdhsa_system_sgpr_workgroup_id_x 1
		.amdhsa_system_sgpr_workgroup_id_y 0
		.amdhsa_system_sgpr_workgroup_id_z 0
		.amdhsa_system_sgpr_workgroup_info 0
		.amdhsa_system_vgpr_workitem_id 0
		.amdhsa_next_free_vgpr 193
		.amdhsa_next_free_sgpr 24
		.amdhsa_reserve_vcc 1
		.amdhsa_reserve_flat_scratch 0
		.amdhsa_float_round_mode_32 0
		.amdhsa_float_round_mode_16_64 0
		.amdhsa_float_denorm_mode_32 3
		.amdhsa_float_denorm_mode_16_64 3
		.amdhsa_dx10_clamp 1
		.amdhsa_ieee_mode 1
		.amdhsa_fp16_overflow 0
		.amdhsa_exception_fp_ieee_invalid_op 0
		.amdhsa_exception_fp_denorm_src 0
		.amdhsa_exception_fp_ieee_div_zero 0
		.amdhsa_exception_fp_ieee_overflow 0
		.amdhsa_exception_fp_ieee_underflow 0
		.amdhsa_exception_fp_ieee_inexact 0
		.amdhsa_exception_int_div_zero 0
	.end_amdhsa_kernel
	.text
.Lfunc_end0:
	.size	bluestein_single_fwd_len2023_dim1_sp_op_CI_CI, .Lfunc_end0-bluestein_single_fwd_len2023_dim1_sp_op_CI_CI
                                        ; -- End function
	.section	.AMDGPU.csdata,"",@progbits
; Kernel info:
; codeLenInByte = 28308
; NumSgprs: 28
; NumVgprs: 193
; ScratchSize: 0
; MemoryBound: 0
; FloatMode: 240
; IeeeMode: 1
; LDSByteSize: 16184 bytes/workgroup (compile time only)
; SGPRBlocks: 3
; VGPRBlocks: 48
; NumSGPRsForWavesPerEU: 28
; NumVGPRsForWavesPerEU: 193
; Occupancy: 1
; WaveLimiterHint : 1
; COMPUTE_PGM_RSRC2:SCRATCH_EN: 0
; COMPUTE_PGM_RSRC2:USER_SGPR: 6
; COMPUTE_PGM_RSRC2:TRAP_HANDLER: 0
; COMPUTE_PGM_RSRC2:TGID_X_EN: 1
; COMPUTE_PGM_RSRC2:TGID_Y_EN: 0
; COMPUTE_PGM_RSRC2:TGID_Z_EN: 0
; COMPUTE_PGM_RSRC2:TIDIG_COMP_CNT: 0
	.type	__hip_cuid_5dbfe966c4466a1d,@object ; @__hip_cuid_5dbfe966c4466a1d
	.section	.bss,"aw",@nobits
	.globl	__hip_cuid_5dbfe966c4466a1d
__hip_cuid_5dbfe966c4466a1d:
	.byte	0                               ; 0x0
	.size	__hip_cuid_5dbfe966c4466a1d, 1

	.ident	"AMD clang version 19.0.0git (https://github.com/RadeonOpenCompute/llvm-project roc-6.4.0 25133 c7fe45cf4b819c5991fe208aaa96edf142730f1d)"
	.section	".note.GNU-stack","",@progbits
	.addrsig
	.addrsig_sym __hip_cuid_5dbfe966c4466a1d
	.amdgpu_metadata
---
amdhsa.kernels:
  - .args:
      - .actual_access:  read_only
        .address_space:  global
        .offset:         0
        .size:           8
        .value_kind:     global_buffer
      - .actual_access:  read_only
        .address_space:  global
        .offset:         8
        .size:           8
        .value_kind:     global_buffer
      - .actual_access:  read_only
        .address_space:  global
        .offset:         16
        .size:           8
        .value_kind:     global_buffer
      - .actual_access:  read_only
        .address_space:  global
        .offset:         24
        .size:           8
        .value_kind:     global_buffer
      - .actual_access:  read_only
        .address_space:  global
        .offset:         32
        .size:           8
        .value_kind:     global_buffer
      - .offset:         40
        .size:           8
        .value_kind:     by_value
      - .address_space:  global
        .offset:         48
        .size:           8
        .value_kind:     global_buffer
      - .address_space:  global
        .offset:         56
        .size:           8
        .value_kind:     global_buffer
      - .address_space:  global
        .offset:         64
        .size:           8
        .value_kind:     global_buffer
      - .address_space:  global
        .offset:         72
        .size:           8
        .value_kind:     global_buffer
      - .offset:         80
        .size:           4
        .value_kind:     by_value
      - .address_space:  global
        .offset:         88
        .size:           8
        .value_kind:     global_buffer
      - .address_space:  global
        .offset:         96
        .size:           8
        .value_kind:     global_buffer
    .group_segment_fixed_size: 16184
    .kernarg_segment_align: 8
    .kernarg_segment_size: 104
    .language:       OpenCL C
    .language_version:
      - 2
      - 0
    .max_flat_workgroup_size: 119
    .name:           bluestein_single_fwd_len2023_dim1_sp_op_CI_CI
    .private_segment_fixed_size: 0
    .sgpr_count:     28
    .sgpr_spill_count: 0
    .symbol:         bluestein_single_fwd_len2023_dim1_sp_op_CI_CI.kd
    .uniform_work_group_size: 1
    .uses_dynamic_stack: false
    .vgpr_count:     193
    .vgpr_spill_count: 0
    .wavefront_size: 64
amdhsa.target:   amdgcn-amd-amdhsa--gfx906
amdhsa.version:
  - 1
  - 2
...

	.end_amdgpu_metadata
